;; amdgpu-corpus repo=ROCm/rocFFT kind=compiled arch=gfx1030 opt=O3
	.text
	.amdgcn_target "amdgcn-amd-amdhsa--gfx1030"
	.amdhsa_code_object_version 6
	.protected	fft_rtc_back_len1400_factors_2_2_2_5_7_5_wgs_56_tpt_56_halfLds_dp_ip_CI_sbrr_dirReg ; -- Begin function fft_rtc_back_len1400_factors_2_2_2_5_7_5_wgs_56_tpt_56_halfLds_dp_ip_CI_sbrr_dirReg
	.globl	fft_rtc_back_len1400_factors_2_2_2_5_7_5_wgs_56_tpt_56_halfLds_dp_ip_CI_sbrr_dirReg
	.p2align	8
	.type	fft_rtc_back_len1400_factors_2_2_2_5_7_5_wgs_56_tpt_56_halfLds_dp_ip_CI_sbrr_dirReg,@function
fft_rtc_back_len1400_factors_2_2_2_5_7_5_wgs_56_tpt_56_halfLds_dp_ip_CI_sbrr_dirReg: ; @fft_rtc_back_len1400_factors_2_2_2_5_7_5_wgs_56_tpt_56_halfLds_dp_ip_CI_sbrr_dirReg
; %bb.0:
	s_clause 0x2
	s_load_dwordx2 s[14:15], s[4:5], 0x18
	s_load_dwordx4 s[8:11], s[4:5], 0x0
	s_load_dwordx2 s[12:13], s[4:5], 0x50
	v_mul_u32_u24_e32 v1, 0x493, v0
	v_mov_b32_e32 v3, 0
	v_add_nc_u32_sdwa v5, s6, v1 dst_sel:DWORD dst_unused:UNUSED_PAD src0_sel:DWORD src1_sel:WORD_1
	v_mov_b32_e32 v1, 0
	v_mov_b32_e32 v6, v3
	v_mov_b32_e32 v2, 0
	s_waitcnt lgkmcnt(0)
	s_load_dwordx2 s[2:3], s[14:15], 0x0
	v_cmp_lt_u64_e64 s0, s[10:11], 2
	s_and_b32 vcc_lo, exec_lo, s0
	s_cbranch_vccnz .LBB0_8
; %bb.1:
	s_load_dwordx2 s[0:1], s[4:5], 0x10
	v_mov_b32_e32 v1, 0
	s_add_u32 s6, s14, 8
	v_mov_b32_e32 v2, 0
	s_addc_u32 s7, s15, 0
	s_mov_b64 s[18:19], 1
	s_waitcnt lgkmcnt(0)
	s_add_u32 s16, s0, 8
	s_addc_u32 s17, s1, 0
.LBB0_2:                                ; =>This Inner Loop Header: Depth=1
	s_load_dwordx2 s[20:21], s[16:17], 0x0
                                        ; implicit-def: $vgpr7_vgpr8
	s_mov_b32 s0, exec_lo
	s_waitcnt lgkmcnt(0)
	v_or_b32_e32 v4, s21, v6
	v_cmpx_ne_u64_e32 0, v[3:4]
	s_xor_b32 s1, exec_lo, s0
	s_cbranch_execz .LBB0_4
; %bb.3:                                ;   in Loop: Header=BB0_2 Depth=1
	v_cvt_f32_u32_e32 v4, s20
	v_cvt_f32_u32_e32 v7, s21
	s_sub_u32 s0, 0, s20
	s_subb_u32 s22, 0, s21
	v_fmac_f32_e32 v4, 0x4f800000, v7
	v_rcp_f32_e32 v4, v4
	v_mul_f32_e32 v4, 0x5f7ffffc, v4
	v_mul_f32_e32 v7, 0x2f800000, v4
	v_trunc_f32_e32 v7, v7
	v_fmac_f32_e32 v4, 0xcf800000, v7
	v_cvt_u32_f32_e32 v7, v7
	v_cvt_u32_f32_e32 v4, v4
	v_mul_lo_u32 v8, s0, v7
	v_mul_hi_u32 v9, s0, v4
	v_mul_lo_u32 v10, s22, v4
	v_add_nc_u32_e32 v8, v9, v8
	v_mul_lo_u32 v9, s0, v4
	v_add_nc_u32_e32 v8, v8, v10
	v_mul_hi_u32 v10, v4, v9
	v_mul_lo_u32 v11, v4, v8
	v_mul_hi_u32 v12, v4, v8
	v_mul_hi_u32 v13, v7, v9
	v_mul_lo_u32 v9, v7, v9
	v_mul_hi_u32 v14, v7, v8
	v_mul_lo_u32 v8, v7, v8
	v_add_co_u32 v10, vcc_lo, v10, v11
	v_add_co_ci_u32_e32 v11, vcc_lo, 0, v12, vcc_lo
	v_add_co_u32 v9, vcc_lo, v10, v9
	v_add_co_ci_u32_e32 v9, vcc_lo, v11, v13, vcc_lo
	v_add_co_ci_u32_e32 v10, vcc_lo, 0, v14, vcc_lo
	v_add_co_u32 v8, vcc_lo, v9, v8
	v_add_co_ci_u32_e32 v9, vcc_lo, 0, v10, vcc_lo
	v_add_co_u32 v4, vcc_lo, v4, v8
	v_add_co_ci_u32_e32 v7, vcc_lo, v7, v9, vcc_lo
	v_mul_hi_u32 v8, s0, v4
	v_mul_lo_u32 v10, s22, v4
	v_mul_lo_u32 v9, s0, v7
	v_add_nc_u32_e32 v8, v8, v9
	v_mul_lo_u32 v9, s0, v4
	v_add_nc_u32_e32 v8, v8, v10
	v_mul_hi_u32 v10, v4, v9
	v_mul_lo_u32 v11, v4, v8
	v_mul_hi_u32 v12, v4, v8
	v_mul_hi_u32 v13, v7, v9
	v_mul_lo_u32 v9, v7, v9
	v_mul_hi_u32 v14, v7, v8
	v_mul_lo_u32 v8, v7, v8
	v_add_co_u32 v10, vcc_lo, v10, v11
	v_add_co_ci_u32_e32 v11, vcc_lo, 0, v12, vcc_lo
	v_add_co_u32 v9, vcc_lo, v10, v9
	v_add_co_ci_u32_e32 v9, vcc_lo, v11, v13, vcc_lo
	v_add_co_ci_u32_e32 v10, vcc_lo, 0, v14, vcc_lo
	v_add_co_u32 v8, vcc_lo, v9, v8
	v_add_co_ci_u32_e32 v9, vcc_lo, 0, v10, vcc_lo
	v_add_co_u32 v4, vcc_lo, v4, v8
	v_add_co_ci_u32_e32 v11, vcc_lo, v7, v9, vcc_lo
	v_mul_hi_u32 v13, v5, v4
	v_mad_u64_u32 v[9:10], null, v6, v4, 0
	v_mad_u64_u32 v[7:8], null, v5, v11, 0
	;; [unrolled: 1-line block ×3, first 2 shown]
	v_add_co_u32 v4, vcc_lo, v13, v7
	v_add_co_ci_u32_e32 v7, vcc_lo, 0, v8, vcc_lo
	v_add_co_u32 v4, vcc_lo, v4, v9
	v_add_co_ci_u32_e32 v4, vcc_lo, v7, v10, vcc_lo
	v_add_co_ci_u32_e32 v7, vcc_lo, 0, v12, vcc_lo
	v_add_co_u32 v4, vcc_lo, v4, v11
	v_add_co_ci_u32_e32 v9, vcc_lo, 0, v7, vcc_lo
	v_mul_lo_u32 v10, s21, v4
	v_mad_u64_u32 v[7:8], null, s20, v4, 0
	v_mul_lo_u32 v11, s20, v9
	v_sub_co_u32 v7, vcc_lo, v5, v7
	v_add3_u32 v8, v8, v11, v10
	v_sub_nc_u32_e32 v10, v6, v8
	v_subrev_co_ci_u32_e64 v10, s0, s21, v10, vcc_lo
	v_add_co_u32 v11, s0, v4, 2
	v_add_co_ci_u32_e64 v12, s0, 0, v9, s0
	v_sub_co_u32 v13, s0, v7, s20
	v_sub_co_ci_u32_e32 v8, vcc_lo, v6, v8, vcc_lo
	v_subrev_co_ci_u32_e64 v10, s0, 0, v10, s0
	v_cmp_le_u32_e32 vcc_lo, s20, v13
	v_cmp_eq_u32_e64 s0, s21, v8
	v_cndmask_b32_e64 v13, 0, -1, vcc_lo
	v_cmp_le_u32_e32 vcc_lo, s21, v10
	v_cndmask_b32_e64 v14, 0, -1, vcc_lo
	v_cmp_le_u32_e32 vcc_lo, s20, v7
	;; [unrolled: 2-line block ×3, first 2 shown]
	v_cndmask_b32_e64 v15, 0, -1, vcc_lo
	v_cmp_eq_u32_e32 vcc_lo, s21, v10
	v_cndmask_b32_e64 v7, v15, v7, s0
	v_cndmask_b32_e32 v10, v14, v13, vcc_lo
	v_add_co_u32 v13, vcc_lo, v4, 1
	v_add_co_ci_u32_e32 v14, vcc_lo, 0, v9, vcc_lo
	v_cmp_ne_u32_e32 vcc_lo, 0, v10
	v_cndmask_b32_e32 v8, v14, v12, vcc_lo
	v_cndmask_b32_e32 v10, v13, v11, vcc_lo
	v_cmp_ne_u32_e32 vcc_lo, 0, v7
	v_cndmask_b32_e32 v8, v9, v8, vcc_lo
	v_cndmask_b32_e32 v7, v4, v10, vcc_lo
.LBB0_4:                                ;   in Loop: Header=BB0_2 Depth=1
	s_andn2_saveexec_b32 s0, s1
	s_cbranch_execz .LBB0_6
; %bb.5:                                ;   in Loop: Header=BB0_2 Depth=1
	v_cvt_f32_u32_e32 v4, s20
	s_sub_i32 s1, 0, s20
	v_rcp_iflag_f32_e32 v4, v4
	v_mul_f32_e32 v4, 0x4f7ffffe, v4
	v_cvt_u32_f32_e32 v4, v4
	v_mul_lo_u32 v7, s1, v4
	v_mul_hi_u32 v7, v4, v7
	v_add_nc_u32_e32 v4, v4, v7
	v_mul_hi_u32 v4, v5, v4
	v_mul_lo_u32 v7, v4, s20
	v_add_nc_u32_e32 v8, 1, v4
	v_sub_nc_u32_e32 v7, v5, v7
	v_subrev_nc_u32_e32 v9, s20, v7
	v_cmp_le_u32_e32 vcc_lo, s20, v7
	v_cndmask_b32_e32 v7, v7, v9, vcc_lo
	v_cndmask_b32_e32 v4, v4, v8, vcc_lo
	v_cmp_le_u32_e32 vcc_lo, s20, v7
	v_add_nc_u32_e32 v8, 1, v4
	v_cndmask_b32_e32 v7, v4, v8, vcc_lo
	v_mov_b32_e32 v8, v3
.LBB0_6:                                ;   in Loop: Header=BB0_2 Depth=1
	s_or_b32 exec_lo, exec_lo, s0
	s_load_dwordx2 s[0:1], s[6:7], 0x0
	v_mul_lo_u32 v4, v8, s20
	v_mul_lo_u32 v11, v7, s21
	v_mad_u64_u32 v[9:10], null, v7, s20, 0
	s_add_u32 s18, s18, 1
	s_addc_u32 s19, s19, 0
	s_add_u32 s6, s6, 8
	s_addc_u32 s7, s7, 0
	;; [unrolled: 2-line block ×3, first 2 shown]
	v_add3_u32 v4, v10, v11, v4
	v_sub_co_u32 v5, vcc_lo, v5, v9
	v_sub_co_ci_u32_e32 v4, vcc_lo, v6, v4, vcc_lo
	s_waitcnt lgkmcnt(0)
	v_mul_lo_u32 v6, s1, v5
	v_mul_lo_u32 v4, s0, v4
	v_mad_u64_u32 v[1:2], null, s0, v5, v[1:2]
	v_cmp_ge_u64_e64 s0, s[18:19], s[10:11]
	s_and_b32 vcc_lo, exec_lo, s0
	v_add3_u32 v2, v6, v2, v4
	s_cbranch_vccnz .LBB0_9
; %bb.7:                                ;   in Loop: Header=BB0_2 Depth=1
	v_mov_b32_e32 v5, v7
	v_mov_b32_e32 v6, v8
	s_branch .LBB0_2
.LBB0_8:
	v_mov_b32_e32 v8, v6
	v_mov_b32_e32 v7, v5
.LBB0_9:
	s_lshl_b64 s[0:1], s[10:11], 3
	v_mul_hi_u32 v3, 0x4924925, v0
	s_add_u32 s0, s14, s0
	s_addc_u32 s1, s15, s1
	s_load_dwordx2 s[4:5], s[4:5], 0x20
	s_load_dwordx2 s[0:1], s[0:1], 0x0
                                        ; implicit-def: $vgpr172
                                        ; implicit-def: $vgpr173
                                        ; implicit-def: $vgpr178
                                        ; implicit-def: $vgpr180
                                        ; implicit-def: $vgpr140
                                        ; implicit-def: $vgpr139
                                        ; implicit-def: $vgpr138
                                        ; implicit-def: $vgpr137
                                        ; implicit-def: $vgpr136
                                        ; implicit-def: $vgpr135
	v_mul_u32_u24_e32 v3, 56, v3
	v_sub_nc_u32_e32 v161, v0, v3
	v_add_nc_u32_e32 v167, 56, v161
	v_add_nc_u32_e32 v164, 0x70, v161
	;; [unrolled: 1-line block ×5, first 2 shown]
	s_waitcnt lgkmcnt(0)
	v_cmp_gt_u64_e32 vcc_lo, s[4:5], v[7:8]
	v_mul_lo_u32 v3, s0, v8
	v_mul_lo_u32 v4, s1, v7
	v_mad_u64_u32 v[0:1], null, s0, v7, v[1:2]
	v_cmp_le_u64_e64 s0, s[4:5], v[7:8]
	v_add_nc_u32_e32 v168, 0x150, v161
	v_add_nc_u32_e32 v165, 0x188, v161
	v_or_b32_e32 v163, 0x1c0, v161
	v_add_nc_u32_e32 v134, 0x1f8, v161
	v_add_nc_u32_e32 v169, 0x230, v161
	v_add3_u32 v1, v4, v1, v3
	v_add_nc_u32_e32 v166, 0x268, v161
	s_and_saveexec_b32 s1, s0
	s_xor_b32 s0, exec_lo, s1
; %bb.10:
	v_add_nc_u32_e32 v172, 56, v161
	v_add_nc_u32_e32 v173, 0x70, v161
	v_add_nc_u32_e32 v178, 0xa8, v161
	v_add_nc_u32_e32 v180, 0xe0, v161
	v_add_nc_u32_e32 v140, 0x118, v161
	v_add_nc_u32_e32 v139, 0x150, v161
	v_add_nc_u32_e32 v138, 0x188, v161
	v_or_b32_e32 v137, 0x1c0, v161
	v_add_nc_u32_e32 v134, 0x1f8, v161
	v_add_nc_u32_e32 v136, 0x230, v161
	;; [unrolled: 1-line block ×3, first 2 shown]
; %bb.11:
	s_or_saveexec_b32 s1, s0
	v_lshlrev_b64 v[132:133], 4, v[0:1]
                                        ; implicit-def: $vgpr94_vgpr95
                                        ; implicit-def: $vgpr74_vgpr75
                                        ; implicit-def: $vgpr54_vgpr55
                                        ; implicit-def: $vgpr14_vgpr15
                                        ; implicit-def: $vgpr58_vgpr59
                                        ; implicit-def: $vgpr22_vgpr23
                                        ; implicit-def: $vgpr62_vgpr63
                                        ; implicit-def: $vgpr26_vgpr27
                                        ; implicit-def: $vgpr66_vgpr67
                                        ; implicit-def: $vgpr30_vgpr31
                                        ; implicit-def: $vgpr78_vgpr79
                                        ; implicit-def: $vgpr34_vgpr35
                                        ; implicit-def: $vgpr82_vgpr83
                                        ; implicit-def: $vgpr38_vgpr39
                                        ; implicit-def: $vgpr86_vgpr87
                                        ; implicit-def: $vgpr42_vgpr43
                                        ; implicit-def: $vgpr98_vgpr99
                                        ; implicit-def: $vgpr46_vgpr47
                                        ; implicit-def: $vgpr106_vgpr107
                                        ; implicit-def: $vgpr50_vgpr51
                                        ; implicit-def: $vgpr102_vgpr103
                                        ; implicit-def: $vgpr18_vgpr19
                                        ; implicit-def: $vgpr90_vgpr91
                                        ; implicit-def: $vgpr10_vgpr11
                                        ; implicit-def: $vgpr6_vgpr7
                                        ; implicit-def: $vgpr2_vgpr3
	s_xor_b32 exec_lo, exec_lo, s1
	s_cbranch_execz .LBB0_15
; %bb.12:
	v_add_nc_u32_e32 v6, 0x2bc, v161
	v_mad_u64_u32 v[0:1], null, s2, v161, 0
	v_mad_u64_u32 v[8:9], null, s2, v167, 0
	;; [unrolled: 1-line block ×3, first 2 shown]
	v_add_nc_u32_e32 v14, 0x2f4, v161
	v_add_co_u32 v68, s0, s12, v132
	v_add_co_ci_u32_e64 v69, s0, s13, v133, s0
	v_mad_u64_u32 v[10:11], null, s2, v14, 0
	v_mad_u64_u32 v[4:5], null, s3, v161, v[1:2]
	;; [unrolled: 1-line block ×3, first 2 shown]
	v_add_nc_u32_e32 v19, 0x32c, v161
	v_add_nc_u32_e32 v25, 0x364, v161
	s_mov_b32 s4, exec_lo
	v_mad_u64_u32 v[5:6], null, s3, v6, v[3:4]
	v_mov_b32_e32 v1, v4
	v_mov_b32_e32 v4, v9
	v_lshlrev_b64 v[0:1], 4, v[0:1]
	v_mov_b32_e32 v3, v5
	v_mad_u64_u32 v[4:5], null, s3, v167, v[4:5]
	v_mov_b32_e32 v5, v11
	v_mov_b32_e32 v11, v13
	v_lshlrev_b64 v[2:3], 4, v[2:3]
	v_add_co_u32 v0, s0, v68, v0
	v_add_co_ci_u32_e64 v1, s0, v69, v1, s0
	v_mov_b32_e32 v9, v4
	v_add_co_u32 v6, s0, v68, v2
	v_mad_u64_u32 v[17:18], null, s3, v164, v[11:12]
	v_lshlrev_b64 v[8:9], 4, v[8:9]
	v_mad_u64_u32 v[14:15], null, s3, v14, v[5:6]
	v_mad_u64_u32 v[15:16], null, s2, v19, 0
	v_add_co_ci_u32_e64 v7, s0, v69, v3, s0
	v_mov_b32_e32 v13, v17
	v_mad_u64_u32 v[17:18], null, s2, v162, 0
	v_mov_b32_e32 v11, v14
	v_mov_b32_e32 v14, v16
	v_add_co_u32 v8, s0, v68, v8
	v_add_co_ci_u32_e64 v9, s0, v69, v9, s0
	v_lshlrev_b64 v[10:11], 4, v[10:11]
	v_mad_u64_u32 v[19:20], null, s3, v19, v[14:15]
	s_clause 0x1
	global_load_dwordx4 v[0:3], v[0:1], off
	global_load_dwordx4 v[4:7], v[6:7], off
	v_add_co_u32 v20, s0, v68, v10
	v_add_co_ci_u32_e64 v21, s0, v69, v11, s0
	v_lshlrev_b64 v[11:12], 4, v[12:13]
	v_mov_b32_e32 v10, v18
	v_mad_u64_u32 v[13:14], null, s2, v25, 0
	v_mov_b32_e32 v16, v19
	v_add_nc_u32_e32 v19, 0x39c, v161
	v_mad_u64_u32 v[22:23], null, s3, v162, v[10:11]
	v_add_co_u32 v23, s0, v68, v11
	v_add_co_ci_u32_e64 v24, s0, v69, v12, s0
	v_mov_b32_e32 v12, v14
	v_lshlrev_b64 v[10:11], 4, v[15:16]
	v_mad_u64_u32 v[15:16], null, s2, v160, 0
	v_mov_b32_e32 v18, v22
	v_mad_u64_u32 v[25:26], null, s3, v25, v[12:13]
	v_add_co_u32 v26, s0, v68, v10
	v_add_co_ci_u32_e64 v27, s0, v69, v11, s0
	v_lshlrev_b64 v[11:12], 4, v[17:18]
	v_mov_b32_e32 v10, v16
	v_mad_u64_u32 v[17:18], null, s2, v19, 0
	v_mov_b32_e32 v14, v25
	v_add_nc_u32_e32 v22, 0x40c, v161
	v_mad_u64_u32 v[28:29], null, s3, v160, v[10:11]
	v_add_co_u32 v29, s0, v68, v11
	v_lshlrev_b64 v[10:11], 4, v[13:14]
	v_mad_u64_u32 v[13:14], null, s2, v170, 0
	v_add_co_ci_u32_e64 v30, s0, v69, v12, s0
	v_mov_b32_e32 v12, v18
	v_mov_b32_e32 v16, v28
	v_add_co_u32 v31, s0, v68, v10
	v_add_co_ci_u32_e64 v32, s0, v69, v11, s0
	v_mad_u64_u32 v[18:19], null, s3, v19, v[12:13]
	v_add_nc_u32_e32 v19, 0x3d4, v161
	v_lshlrev_b64 v[11:12], 4, v[15:16]
	v_mov_b32_e32 v10, v14
	v_mad_u64_u32 v[15:16], null, s2, v19, 0
	v_mad_u64_u32 v[33:34], null, s3, v170, v[10:11]
	v_add_co_u32 v34, s0, v68, v11
	v_add_co_ci_u32_e64 v35, s0, v69, v12, s0
	v_lshlrev_b64 v[10:11], 4, v[17:18]
	v_mov_b32_e32 v12, v16
	v_mov_b32_e32 v14, v33
	v_mad_u64_u32 v[17:18], null, s2, v168, 0
	v_mad_u64_u32 v[36:37], null, s3, v19, v[12:13]
	v_add_co_u32 v37, s0, v68, v10
	v_add_co_ci_u32_e64 v38, s0, v69, v11, s0
	v_lshlrev_b64 v[11:12], 4, v[13:14]
	v_mad_u64_u32 v[13:14], null, s2, v22, 0
	v_mov_b32_e32 v10, v18
	v_mov_b32_e32 v16, v36
	v_add_co_u32 v39, s0, v68, v11
	v_add_co_ci_u32_e64 v40, s0, v69, v12, s0
	v_mov_b32_e32 v12, v14
	v_mad_u64_u32 v[18:19], null, s3, v168, v[10:11]
	v_lshlrev_b64 v[10:11], 4, v[15:16]
	v_mad_u64_u32 v[15:16], null, s2, v165, 0
	v_mad_u64_u32 v[41:42], null, s3, v22, v[12:13]
	v_add_nc_u32_e32 v19, 0x444, v161
	v_add_co_u32 v52, s0, v68, v10
	v_add_co_ci_u32_e64 v53, s0, v69, v11, s0
	v_lshlrev_b64 v[11:12], 4, v[17:18]
	v_mov_b32_e32 v10, v16
	v_mad_u64_u32 v[17:18], null, s2, v19, 0
	v_mov_b32_e32 v14, v41
	v_add_nc_u32_e32 v22, 0x4b4, v161
	v_mad_u64_u32 v[42:43], null, s3, v165, v[10:11]
	v_add_co_u32 v54, s0, v68, v11
	v_lshlrev_b64 v[10:11], 4, v[13:14]
	v_mad_u64_u32 v[13:14], null, s2, v163, 0
	v_add_co_ci_u32_e64 v55, s0, v69, v12, s0
	v_mov_b32_e32 v12, v18
	v_mov_b32_e32 v16, v42
	v_add_co_u32 v56, s0, v68, v10
	v_add_co_ci_u32_e64 v57, s0, v69, v11, s0
	v_mad_u64_u32 v[18:19], null, s3, v19, v[12:13]
	v_add_nc_u32_e32 v19, 0x47c, v161
	v_lshlrev_b64 v[11:12], 4, v[15:16]
	v_mov_b32_e32 v10, v14
	v_mad_u64_u32 v[15:16], null, s2, v19, 0
	v_mad_u64_u32 v[41:42], null, s3, v163, v[10:11]
	v_add_co_u32 v58, s0, v68, v11
	v_add_co_ci_u32_e64 v59, s0, v69, v12, s0
	v_mov_b32_e32 v12, v16
	v_lshlrev_b64 v[10:11], 4, v[17:18]
	v_mov_b32_e32 v14, v41
	v_mad_u64_u32 v[17:18], null, s2, v134, 0
	v_mad_u64_u32 v[41:42], null, s3, v19, v[12:13]
	v_add_co_u32 v60, s0, v68, v10
	v_add_co_ci_u32_e64 v61, s0, v69, v11, s0
	v_lshlrev_b64 v[10:11], 4, v[13:14]
	v_mad_u64_u32 v[13:14], null, s2, v22, 0
	v_mov_b32_e32 v12, v18
	v_mov_b32_e32 v16, v41
	v_add_co_u32 v62, s0, v68, v10
	v_add_co_ci_u32_e64 v63, s0, v69, v11, s0
	v_mad_u64_u32 v[18:19], null, s3, v134, v[12:13]
	v_lshlrev_b64 v[10:11], 4, v[15:16]
	v_mad_u64_u32 v[15:16], null, s2, v169, 0
	v_mov_b32_e32 v12, v14
	v_add_nc_u32_e32 v19, 0x4ec, v161
	v_add_co_u32 v64, s0, v68, v10
	v_mad_u64_u32 v[41:42], null, s3, v22, v[12:13]
	v_add_co_ci_u32_e64 v65, s0, v69, v11, s0
	v_lshlrev_b64 v[11:12], 4, v[17:18]
	v_mov_b32_e32 v10, v16
	v_add_nc_u32_e32 v22, 0x524, v161
	v_mov_b32_e32 v14, v41
	v_mad_u64_u32 v[41:42], null, s2, v166, 0
	v_mad_u64_u32 v[16:17], null, s3, v169, v[10:11]
	v_mad_u64_u32 v[17:18], null, s2, v19, 0
	v_add_co_u32 v70, s0, v68, v11
	v_lshlrev_b64 v[10:11], 4, v[13:14]
	v_mad_u64_u32 v[13:14], null, s2, v22, 0
	v_add_co_ci_u32_e64 v71, s0, v69, v12, s0
	v_mov_b32_e32 v12, v18
	v_add_co_u32 v72, s0, v68, v10
	v_add_co_ci_u32_e64 v73, s0, v69, v11, s0
	v_mad_u64_u32 v[18:19], null, s3, v19, v[12:13]
	v_mov_b32_e32 v12, v42
	v_mov_b32_e32 v10, v14
	v_lshlrev_b64 v[14:15], 4, v[15:16]
	v_mad_u64_u32 v[42:43], null, s3, v166, v[12:13]
	v_mad_u64_u32 v[43:44], null, s3, v22, v[10:11]
	v_lshlrev_b64 v[16:17], 4, v[17:18]
	s_clause 0x1
	global_load_dwordx4 v[8:11], v[8:9], off
	global_load_dwordx4 v[88:91], v[20:21], off
	v_add_co_u32 v20, s0, v68, v14
	v_lshlrev_b64 v[18:19], 4, v[41:42]
	v_add_co_ci_u32_e64 v21, s0, v69, v15, s0
	v_mov_b32_e32 v14, v43
	v_add_co_u32 v74, s0, v68, v16
	v_add_co_ci_u32_e64 v75, s0, v69, v17, s0
	v_lshlrev_b64 v[12:13], 4, v[13:14]
	v_add_co_u32 v14, s0, v68, v18
	v_add_co_ci_u32_e64 v15, s0, v69, v19, s0
	v_add_co_u32 v92, s0, v68, v12
	v_add_co_ci_u32_e64 v93, s0, v69, v13, s0
	s_clause 0x13
	global_load_dwordx4 v[16:19], v[23:24], off
	global_load_dwordx4 v[100:103], v[26:27], off
	;; [unrolled: 1-line block ×20, first 2 shown]
                                        ; implicit-def: $vgpr72_vgpr73
                                        ; implicit-def: $vgpr92_vgpr93
	v_cmpx_gt_u32_e32 28, v161
	s_cbranch_execz .LBB0_14
; %bb.13:
	v_or_b32_e32 v74, 0x2a0, v161
	v_add_nc_u32_e32 v92, 0x55c, v161
	v_mad_u64_u32 v[70:71], null, s2, v74, 0
	v_mad_u64_u32 v[72:73], null, s2, v92, 0
	v_mad_u64_u32 v[74:75], null, s3, v74, v[71:72]
	v_mad_u64_u32 v[92:93], null, s3, v92, v[73:74]
	v_mov_b32_e32 v71, v74
	v_lshlrev_b64 v[70:71], 4, v[70:71]
	v_mov_b32_e32 v73, v92
	v_add_co_u32 v70, s0, v68, v70
	v_lshlrev_b64 v[72:73], 4, v[72:73]
	v_add_co_ci_u32_e64 v71, s0, v69, v71, s0
	v_add_co_u32 v68, s0, v68, v72
	v_add_co_ci_u32_e64 v69, s0, v69, v73, s0
	s_clause 0x1
	global_load_dwordx4 v[72:75], v[70:71], off
	global_load_dwordx4 v[92:95], v[68:69], off
.LBB0_14:
	s_or_b32 exec_lo, exec_lo, s4
	v_mov_b32_e32 v135, v166
	v_mov_b32_e32 v136, v169
	;; [unrolled: 1-line block ×10, first 2 shown]
.LBB0_15:
	s_or_b32 exec_lo, exec_lo, s1
	s_waitcnt vmcnt(22)
	v_add_f64 v[110:111], v[0:1], -v[4:5]
	s_waitcnt vmcnt(6)
	v_add_f64 v[151:152], v[28:29], -v[64:65]
	;; [unrolled: 2-line block ×3, first 2 shown]
	v_add_f64 v[114:115], v[8:9], -v[88:89]
	v_add_f64 v[155:156], v[24:25], -v[60:61]
	;; [unrolled: 1-line block ×10, first 2 shown]
	v_add_nc_u32_e32 v171, 0x2a0, v161
	v_lshl_add_u32 v84, v161, 4, 0
	v_lshl_add_u32 v57, v172, 4, 0
	;; [unrolled: 1-line block ×5, first 2 shown]
	v_cmp_gt_u32_e64 s0, 28, v161
	v_fma_f64 v[108:109], v[0:1], 2.0, -v[110:111]
	v_fma_f64 v[149:150], v[28:29], 2.0, -v[151:152]
	;; [unrolled: 1-line block ×13, first 2 shown]
	v_lshl_add_u32 v37, v173, 4, 0
	v_lshl_add_u32 v36, v178, 4, 0
	v_lshl_add_u32 v33, v180, 4, 0
	v_lshl_add_u32 v44, v140, 4, 0
	v_lshl_add_u32 v49, v139, 4, 0
	v_lshl_add_u32 v45, v138, 4, 0
	v_lshl_add_u32 v48, v137, 4, 0
	v_lshl_add_u32 v32, v171, 4, 0
	ds_write_b128 v84, v[108:111]
	ds_write_b128 v57, v[112:115]
	;; [unrolled: 1-line block ×12, first 2 shown]
	s_and_saveexec_b32 s1, s0
	s_cbranch_execz .LBB0_17
; %bb.16:
	ds_write_b128 v32, v[68:71]
.LBB0_17:
	s_or_b32 exec_lo, exec_lo, s1
	v_lshl_add_u32 v174, v161, 3, 0
	v_lshlrev_b32_e32 v88, 3, v140
	v_lshlrev_b32_e32 v40, 3, v139
	;; [unrolled: 1-line block ×3, first 2 shown]
	v_lshl_add_u32 v175, v172, 3, 0
	v_add_nc_u32_e32 v0, 0x1000, v174
	v_add_nc_u32_e32 v4, 0x1800, v174
	v_lshl_add_u32 v176, v173, 3, 0
	v_lshl_add_u32 v179, v180, 3, 0
	v_add_nc_u32_e32 v5, 0x2000, v174
	v_lshlrev_b32_e32 v85, 3, v137
	s_waitcnt lgkmcnt(0)
	s_barrier
	buffer_gl0_inv
	v_lshl_add_u32 v177, v178, 3, 0
	ds_read2_b64 v[112:115], v0 offset0:188 offset1:244
	ds_read2_b64 v[108:111], v4 offset0:44 offset1:100
	ds_read_b64 v[0:1], v174
	ds_read_b64 v[8:9], v175
	;; [unrolled: 1-line block ×4, first 2 shown]
	ds_read2_b64 v[120:123], v4 offset0:156 offset1:212
	v_sub_nc_u32_e32 v4, v44, v88
	v_lshlrev_b32_e32 v89, 3, v134
	v_sub_nc_u32_e32 v28, v49, v40
	v_lshlrev_b32_e32 v92, 3, v136
	;; [unrolled: 2-line block ×3, first 2 shown]
	v_add_nc_u32_e32 v64, 0x2400, v174
	ds_read2_b64 v[116:119], v5 offset0:12 offset1:68
	ds_read_b64 v[20:21], v179
	ds_read_b64 v[24:25], v4
	;; [unrolled: 1-line block ×4, first 2 shown]
	v_sub_nc_u32_e32 v4, v48, v85
	ds_read2_b64 v[124:127], v5 offset0:124 offset1:180
	v_sub_nc_u32_e32 v5, v52, v89
	v_sub_nc_u32_e32 v76, v56, v92
	;; [unrolled: 1-line block ×3, first 2 shown]
	ds_read2_b64 v[128:131], v64 offset0:108 offset1:164
	ds_read_b64 v[64:65], v4
	ds_read_b64 v[72:73], v5
	;; [unrolled: 1-line block ×4, first 2 shown]
	s_and_saveexec_b32 s1, s0
	s_cbranch_execz .LBB0_19
; %bb.18:
	ds_read_b64 v[68:69], v174 offset:5376
	ds_read_b64 v[70:71], v174 offset:10976
.LBB0_19:
	s_or_b32 exec_lo, exec_lo, s1
	v_add_f64 v[96:97], v[2:3], -v[6:7]
	v_add_f64 v[4:5], v[74:75], -v[94:95]
	;; [unrolled: 1-line block ×13, first 2 shown]
	v_sub_nc_u32_e32 v54, 0, v88
	v_sub_nc_u32_e32 v7, 0, v89
	;; [unrolled: 1-line block ×3, first 2 shown]
	s_waitcnt lgkmcnt(0)
	s_barrier
	buffer_gl0_inv
	v_fma_f64 v[94:95], v[2:3], 2.0, -v[96:97]
	v_fma_f64 v[2:3], v[74:75], 2.0, -v[4:5]
	;; [unrolled: 1-line block ×13, first 2 shown]
	v_sub_nc_u32_e32 v15, 0, v40
	v_sub_nc_u32_e32 v14, 0, v41
	v_sub_nc_u32_e32 v11, 0, v85
	v_sub_nc_u32_e32 v10, 0, v92
	ds_write_b128 v84, v[94:97]
	ds_write_b128 v57, v[98:101]
	;; [unrolled: 1-line block ×12, first 2 shown]
	s_and_saveexec_b32 s1, s0
	s_cbranch_execz .LBB0_21
; %bb.20:
	ds_write_b128 v32, v[2:5]
.LBB0_21:
	s_or_b32 exec_lo, exec_lo, s1
	v_add_nc_u32_e32 v18, 0x1000, v174
	v_add_nc_u32_e32 v19, 0x1800, v174
	s_waitcnt lgkmcnt(0)
	s_barrier
	buffer_gl0_inv
	ds_read2_b64 v[34:37], v18 offset0:188 offset1:244
	ds_read2_b64 v[30:33], v19 offset0:44 offset1:100
	ds_read_b64 v[62:63], v174
	ds_read_b64 v[66:67], v175
	;; [unrolled: 1-line block ×4, first 2 shown]
	v_add_nc_u32_e32 v18, 0x2000, v174
	v_add_nc_u32_e32 v155, v48, v11
	;; [unrolled: 1-line block ×9, first 2 shown]
	ds_read2_b64 v[38:41], v19 offset0:156 offset1:212
	ds_read2_b64 v[42:45], v18 offset0:12 offset1:68
	ds_read_b64 v[82:83], v179
	ds_read_b64 v[84:85], v181
	;; [unrolled: 1-line block ×4, first 2 shown]
	ds_read2_b64 v[46:49], v18 offset0:124 offset1:180
	ds_read2_b64 v[50:53], v11 offset0:108 offset1:164
	ds_read_b64 v[90:91], v155
	ds_read_b64 v[92:93], v156
	;; [unrolled: 1-line block ×4, first 2 shown]
	v_lshlrev_b32_e32 v152, 1, v161
	v_lshlrev_b32_e32 v151, 1, v172
	;; [unrolled: 1-line block ×12, first 2 shown]
	s_and_saveexec_b32 s1, s0
	s_cbranch_execz .LBB0_23
; %bb.22:
	ds_read_b64 v[2:3], v174 offset:5376
	ds_read_b64 v[4:5], v174 offset:10976
.LBB0_23:
	s_or_b32 exec_lo, exec_lo, s1
	v_and_b32_e32 v158, 1, v161
	v_lshlrev_b32_e32 v140, 1, v171
	v_lshlrev_b32_e32 v6, 4, v158
	v_and_or_b32 v138, 0x7c, v152, v158
	v_and_or_b32 v139, 0xfc, v151, v158
	;; [unrolled: 1-line block ×4, first 2 shown]
	global_load_dwordx4 v[54:57], v6, s[8:9]
	v_and_or_b32 v186, 0x3fc, v148, v158
	v_and_or_b32 v187, 0x2fc, v147, v158
	;; [unrolled: 1-line block ×8, first 2 shown]
	v_lshl_add_u32 v159, v138, 3, 0
	v_lshl_add_u32 v183, v139, 3, 0
	;; [unrolled: 1-line block ×12, first 2 shown]
	s_waitcnt vmcnt(0) lgkmcnt(0)
	s_barrier
	buffer_gl0_inv
	v_mul_f64 v[6:7], v[34:35], v[56:57]
	v_mul_f64 v[58:59], v[42:43], v[56:57]
	;; [unrolled: 1-line block ×13, first 2 shown]
	v_fma_f64 v[6:7], v[112:113], v[54:55], v[6:7]
	v_fma_f64 v[58:59], v[116:117], v[54:55], v[58:59]
	;; [unrolled: 1-line block ×13, first 2 shown]
	v_add_f64 v[6:7], v[0:1], -v[6:7]
	v_add_f64 v[136:137], v[28:29], -v[58:59]
	;; [unrolled: 1-line block ×13, first 2 shown]
	v_fma_f64 v[134:135], v[0:1], 2.0, -v[6:7]
	v_fma_f64 v[28:29], v[28:29], 2.0, -v[136:137]
	v_fma_f64 v[0:1], v[68:69], 2.0, -v[58:59]
	v_fma_f64 v[8:9], v[8:9], 2.0, -v[10:11]
	v_fma_f64 v[12:13], v[12:13], 2.0, -v[14:15]
	v_fma_f64 v[16:17], v[16:17], 2.0, -v[18:19]
	v_fma_f64 v[20:21], v[20:21], 2.0, -v[22:23]
	v_fma_f64 v[24:25], v[24:25], 2.0, -v[26:27]
	v_fma_f64 v[60:61], v[60:61], 2.0, -v[98:99]
	v_fma_f64 v[64:65], v[64:65], 2.0, -v[100:101]
	v_fma_f64 v[72:73], v[72:73], 2.0, -v[102:103]
	v_fma_f64 v[76:77], v[76:77], 2.0, -v[104:105]
	v_fma_f64 v[80:81], v[80:81], 2.0, -v[106:107]
	ds_write2_b64 v159, v[134:135], v[6:7] offset1:2
	ds_write2_b64 v183, v[8:9], v[10:11] offset1:2
	;; [unrolled: 1-line block ×12, first 2 shown]
	s_and_saveexec_b32 s1, s0
	s_cbranch_execz .LBB0_25
; %bb.24:
	v_and_or_b32 v6, 0x57c, v140, v158
	v_lshl_add_u32 v6, v6, 3, 0
	ds_write2_b64 v6, v[0:1], v[58:59] offset1:2
.LBB0_25:
	s_or_b32 exec_lo, exec_lo, s1
	v_add_nc_u32_e32 v6, 0x1000, v174
	v_add_nc_u32_e32 v14, 0x1800, v174
	;; [unrolled: 1-line block ×4, first 2 shown]
	s_waitcnt lgkmcnt(0)
	s_barrier
	buffer_gl0_inv
	ds_read2_b64 v[10:13], v6 offset0:188 offset1:244
	ds_read2_b64 v[6:9], v14 offset0:44 offset1:100
	ds_read_b64 v[68:69], v174
	ds_read_b64 v[72:73], v175
	ds_read_b64 v[76:77], v176
	ds_read_b64 v[80:81], v177
	ds_read2_b64 v[18:21], v14 offset0:156 offset1:212
	ds_read2_b64 v[14:17], v22 offset0:12 offset1:68
	ds_read_b64 v[98:99], v179
	ds_read_b64 v[100:101], v181
	ds_read_b64 v[102:103], v153
	ds_read_b64 v[104:105], v154
	;; [unrolled: 6-line block ×3, first 2 shown]
	s_and_saveexec_b32 s1, s0
	s_cbranch_execz .LBB0_27
; %bb.26:
	ds_read_b64 v[0:1], v174 offset:5376
	ds_read_b64 v[58:59], v174 offset:10976
.LBB0_27:
	s_or_b32 exec_lo, exec_lo, s1
	v_mul_f64 v[60:61], v[112:113], v[56:57]
	v_mul_f64 v[64:65], v[114:115], v[56:57]
	v_mul_f64 v[108:109], v[108:109], v[56:57]
	v_mul_f64 v[110:111], v[110:111], v[56:57]
	v_mul_f64 v[112:113], v[120:121], v[56:57]
	v_mul_f64 v[114:115], v[122:123], v[56:57]
	v_mul_f64 v[116:117], v[116:117], v[56:57]
	v_mul_f64 v[118:119], v[118:119], v[56:57]
	v_mul_f64 v[120:121], v[124:125], v[56:57]
	v_mul_f64 v[122:123], v[126:127], v[56:57]
	v_mul_f64 v[124:125], v[128:129], v[56:57]
	v_mul_f64 v[126:127], v[130:131], v[56:57]
	v_mul_f64 v[56:57], v[70:71], v[56:57]
	s_waitcnt lgkmcnt(0)
	s_barrier
	buffer_gl0_inv
	v_fma_f64 v[34:35], v[34:35], v[54:55], -v[60:61]
	v_fma_f64 v[36:37], v[36:37], v[54:55], -v[64:65]
	;; [unrolled: 1-line block ×13, first 2 shown]
	v_add_f64 v[34:35], v[62:63], -v[34:35]
	v_add_f64 v[36:37], v[66:67], -v[36:37]
	;; [unrolled: 1-line block ×13, first 2 shown]
	v_fma_f64 v[4:5], v[62:63], 2.0, -v[34:35]
	v_fma_f64 v[54:55], v[66:67], 2.0, -v[36:37]
	;; [unrolled: 1-line block ×13, first 2 shown]
	ds_write2_b64 v159, v[4:5], v[34:35] offset1:2
	ds_write2_b64 v183, v[54:55], v[36:37] offset1:2
	;; [unrolled: 1-line block ×12, first 2 shown]
	s_and_saveexec_b32 s1, s0
	s_cbranch_execz .LBB0_29
; %bb.28:
	v_and_or_b32 v2, 0x57c, v140, v158
	v_lshl_add_u32 v2, v2, 3, 0
	ds_write2_b64 v2, v[60:61], v[64:65] offset1:2
.LBB0_29:
	s_or_b32 exec_lo, exec_lo, s1
	v_add_nc_u32_e32 v2, 0x1000, v174
	v_add_nc_u32_e32 v3, 0x1800, v174
	s_waitcnt lgkmcnt(0)
	s_barrier
	buffer_gl0_inv
	ds_read2_b64 v[34:37], v2 offset0:188 offset1:244
	ds_read2_b64 v[30:33], v3 offset0:44 offset1:100
	v_add_nc_u32_e32 v2, 0x2000, v174
	ds_read_b64 v[62:63], v174
	ds_read_b64 v[66:67], v175
	;; [unrolled: 1-line block ×4, first 2 shown]
	ds_read2_b64 v[46:49], v3 offset0:156 offset1:212
	ds_read2_b64 v[42:45], v2 offset0:12 offset1:68
	v_add_nc_u32_e32 v3, 0x2400, v174
	ds_read_b64 v[78:79], v179
	ds_read_b64 v[82:83], v181
	;; [unrolled: 1-line block ×4, first 2 shown]
	ds_read2_b64 v[54:57], v2 offset0:124 offset1:180
	ds_read2_b64 v[50:53], v3 offset0:108 offset1:164
	ds_read_b64 v[88:89], v155
	ds_read_b64 v[90:91], v156
	;; [unrolled: 1-line block ×4, first 2 shown]
	s_and_saveexec_b32 s1, s0
	s_cbranch_execz .LBB0_31
; %bb.30:
	ds_read_b64 v[60:61], v174 offset:5376
	ds_read_b64 v[64:65], v174 offset:10976
.LBB0_31:
	s_or_b32 exec_lo, exec_lo, s1
	v_and_b32_e32 v108, 3, v161
	v_lshlrev_b32_e32 v2, 4, v108
	v_and_or_b32 v158, 0x3f8, v145, v108
	v_and_or_b32 v159, 0x3f8, v144, v108
	;; [unrolled: 1-line block ×4, first 2 shown]
	global_load_dwordx4 v[38:41], v2, s[8:9] offset:32
	v_and_or_b32 v151, 0xf8, v151, v108
	v_and_or_b32 v150, 0x1f8, v150, v108
	;; [unrolled: 1-line block ×6, first 2 shown]
	s_waitcnt vmcnt(0) lgkmcnt(0)
	s_barrier
	buffer_gl0_inv
	v_mul_f64 v[2:3], v[34:35], v[40:41]
	v_mul_f64 v[4:5], v[36:37], v[40:41]
	;; [unrolled: 1-line block ×13, first 2 shown]
	v_fma_f64 v[2:3], v[10:11], v[38:39], v[2:3]
	v_fma_f64 v[4:5], v[12:13], v[38:39], v[4:5]
	;; [unrolled: 1-line block ×12, first 2 shown]
	v_add_f64 v[129:130], v[68:69], -v[2:3]
	v_fma_f64 v[2:3], v[58:59], v[38:39], v[127:128]
	v_add_f64 v[4:5], v[72:73], -v[4:5]
	v_add_f64 v[96:97], v[76:77], -v[96:97]
	;; [unrolled: 1-line block ×11, first 2 shown]
	v_and_or_b32 v128, 0x7f8, v143, v108
	v_and_or_b32 v143, 0x4f8, v142, v108
	v_lshl_add_u32 v114, v151, 3, 0
	v_lshl_add_u32 v115, v150, 3, 0
	;; [unrolled: 1-line block ×3, first 2 shown]
	v_fma_f64 v[126:127], v[68:69], 2.0, -v[129:130]
	v_add_f64 v[2:3], v[0:1], -v[2:3]
	v_fma_f64 v[141:142], v[72:73], 2.0, -v[4:5]
	v_fma_f64 v[148:149], v[76:77], 2.0, -v[96:97]
	;; [unrolled: 1-line block ×11, first 2 shown]
	v_lshl_add_u32 v68, v154, 3, 0
	v_lshl_add_u32 v69, v155, 3, 0
	;; [unrolled: 1-line block ×9, first 2 shown]
	ds_write2_b64 v109, v[126:127], v[129:130] offset1:4
	ds_write2_b64 v114, v[141:142], v[4:5] offset1:4
	;; [unrolled: 1-line block ×12, first 2 shown]
	s_and_saveexec_b32 s1, s0
	s_cbranch_execz .LBB0_33
; %bb.32:
	v_fma_f64 v[0:1], v[0:1], 2.0, -v[2:3]
	v_and_or_b32 v4, 0x578, v140, v108
	v_lshl_add_u32 v4, v4, 3, 0
	ds_write2_b64 v4, v[0:1], v[2:3] offset1:4
.LBB0_33:
	s_or_b32 exec_lo, exec_lo, s1
	v_mul_f64 v[0:1], v[10:11], v[40:41]
	v_mul_f64 v[6:7], v[6:7], v[40:41]
	;; [unrolled: 1-line block ×13, first 2 shown]
	v_add_nc_u32_e32 v111, 0x1800, v174
	v_add_nc_u32_e32 v110, 0x2000, v174
	;; [unrolled: 1-line block ×3, first 2 shown]
	s_waitcnt lgkmcnt(0)
	s_barrier
	buffer_gl0_inv
	ds_read_b64 v[102:103], v182
	v_add_nc_u32_e32 v113, 0x1000, v174
	v_add_nc_u32_e32 v116, 0x1400, v174
	v_fma_f64 v[28:29], v[34:35], v[38:39], -v[0:1]
	v_fma_f64 v[6:7], v[30:31], v[38:39], -v[6:7]
	;; [unrolled: 1-line block ×12, first 2 shown]
	ds_read_b64 v[98:99], v174
	ds_read_b64 v[96:97], v175
	;; [unrolled: 1-line block ×4, first 2 shown]
	v_add_nc_u32_e32 v117, 0x2800, v174
	v_add_f64 v[44:45], v[62:63], -v[28:29]
	v_add_f64 v[48:49], v[70:71], -v[6:7]
	v_fma_f64 v[6:7], v[64:65], v[38:39], -v[26:27]
	v_add_f64 v[46:47], v[66:67], -v[34:35]
	v_add_f64 v[50:51], v[74:75], -v[8:9]
	;; [unrolled: 1-line block ×10, first 2 shown]
	ds_read_b64 v[104:105], v181
	ds_read_b64 v[100:101], v179
	ds_read2_b64 v[40:43], v111 offset0:72 offset1:128
	ds_read2_b64 v[8:11], v110 offset0:40 offset1:96
	;; [unrolled: 1-line block ×9, first 2 shown]
	s_waitcnt lgkmcnt(0)
	s_barrier
	buffer_gl0_inv
	v_fma_f64 v[62:63], v[62:63], 2.0, -v[44:45]
	v_add_f64 v[6:7], v[60:61], -v[6:7]
	v_fma_f64 v[64:65], v[66:67], 2.0, -v[46:47]
	v_fma_f64 v[66:67], v[70:71], 2.0, -v[48:49]
	;; [unrolled: 1-line block ×11, first 2 shown]
	ds_write2_b64 v109, v[62:63], v[44:45] offset1:4
	ds_write2_b64 v114, v[64:65], v[46:47] offset1:4
	;; [unrolled: 1-line block ×12, first 2 shown]
	s_and_saveexec_b32 s1, s0
	s_cbranch_execz .LBB0_35
; %bb.34:
	v_fma_f64 v[44:45], v[60:61], 2.0, -v[6:7]
	v_and_or_b32 v46, 0x578, v140, v108
	v_lshl_add_u32 v46, v46, 3, 0
	ds_write2_b64 v46, v[44:45], v[6:7] offset1:4
.LBB0_35:
	s_or_b32 exec_lo, exec_lo, s1
	v_and_b32_e32 v183, 7, v161
	s_waitcnt lgkmcnt(0)
	s_barrier
	buffer_gl0_inv
	v_lshrrev_b32_e32 v123, 3, v172
	v_lshlrev_b32_e32 v44, 6, v183
	v_lshrrev_b32_e32 v126, 3, v173
	v_lshrrev_b32_e32 v122, 3, v161
	;; [unrolled: 1-line block ×3, first 2 shown]
	v_mul_lo_u32 v123, v123, 40
	s_clause 0x3
	global_load_dwordx4 v[56:59], v44, s[8:9] offset:96
	global_load_dwordx4 v[52:55], v44, s[8:9] offset:112
	;; [unrolled: 1-line block ×4, first 2 shown]
	ds_read_b64 v[106:107], v182
	ds_read2_b64 v[92:95], v111 offset0:72 offset1:128
	ds_read2_b64 v[60:63], v110 offset0:40 offset1:96
	;; [unrolled: 1-line block ×9, first 2 shown]
	ds_read_b64 v[124:125], v181
	ds_read_b64 v[108:109], v179
	v_mul_lo_u32 v126, v126, 40
	v_mul_u32_u24_e32 v122, 40, v122
	v_mul_lo_u32 v228, v127, 40
	v_lshrrev_b32_e32 v128, 3, v180
	v_or_b32_e32 v231, v123, v183
	s_mov_b32 s6, 0x134454ff
	v_or_b32_e32 v230, v122, v183
	s_mov_b32 s7, 0xbfee6f0e
	v_or_b32_e32 v232, v126, v183
	v_mul_lo_u32 v229, v128, 40
	s_mov_b32 s15, 0x3fee6f0e
	s_mov_b32 s14, s6
	;; [unrolled: 1-line block ×8, first 2 shown]
	ds_read_b64 v[118:119], v174
	ds_read_b64 v[116:117], v175
	;; [unrolled: 1-line block ×4, first 2 shown]
	s_waitcnt vmcnt(0) lgkmcnt(0)
	s_barrier
	buffer_gl0_inv
	v_cmp_gt_u32_e64 s0, 32, v161
	v_mul_f64 v[156:157], v[38:39], v[58:59]
	v_mul_f64 v[136:137], v[106:107], v[54:55]
	;; [unrolled: 1-line block ×37, first 2 shown]
	v_fma_f64 v[152:153], v[40:41], v[48:49], v[122:123]
	v_fma_f64 v[122:123], v[92:93], v[48:49], -v[130:131]
	v_fma_f64 v[92:93], v[94:95], v[48:49], -v[144:145]
	;; [unrolled: 1-line block ×3, first 2 shown]
	v_fma_f64 v[156:157], v[102:103], v[52:53], v[136:137]
	v_fma_f64 v[142:143], v[42:43], v[48:49], v[134:135]
	;; [unrolled: 1-line block ×7, first 2 shown]
	v_fma_f64 v[138:139], v[88:89], v[56:57], -v[146:147]
	v_fma_f64 v[146:147], v[32:33], v[52:53], v[150:151]
	v_mul_f64 v[186:187], v[32:33], v[54:55]
	v_fma_f64 v[148:149], v[20:21], v[44:45], v[188:189]
	v_fma_f64 v[136:137], v[16:17], v[48:49], v[194:195]
	v_fma_f64 v[90:91], v[106:107], v[52:53], -v[140:141]
	v_fma_f64 v[140:141], v[22:23], v[44:45], v[198:199]
	v_mul_f64 v[46:47], v[26:27], v[46:47]
	v_fma_f64 v[150:151], v[124:125], v[56:57], -v[128:129]
	v_fma_f64 v[124:125], v[28:29], v[52:53], v[206:207]
	v_fma_f64 v[126:127], v[18:19], v[48:49], v[210:211]
	;; [unrolled: 1-line block ×4, first 2 shown]
	v_fma_f64 v[88:89], v[62:63], v[44:45], -v[184:185]
	v_fma_f64 v[10:11], v[80:81], v[44:45], -v[190:191]
	;; [unrolled: 1-line block ×8, first 2 shown]
	v_fma_f64 v[78:79], v[14:15], v[56:57], v[218:219]
	v_fma_f64 v[64:65], v[74:75], v[56:57], -v[220:221]
	v_fma_f64 v[74:75], v[30:31], v[52:53], v[222:223]
	v_fma_f64 v[82:83], v[8:9], v[48:49], v[224:225]
	v_fma_f64 v[56:57], v[60:61], v[48:49], -v[50:51]
	v_fma_f64 v[60:61], v[26:27], v[44:45], v[226:227]
	v_mul_f64 v[54:55], v[30:31], v[54:55]
	v_add_f64 v[14:15], v[156:157], v[152:153]
	v_add_f64 v[24:25], v[154:155], v[158:159]
	v_add_f64 v[20:21], v[154:155], -v[156:157]
	v_add_f64 v[22:23], v[158:159], -v[152:153]
	v_add_f64 v[32:33], v[146:147], v[142:143]
	v_fma_f64 v[84:85], v[84:85], v[52:53], -v[186:187]
	v_add_f64 v[26:27], v[156:157], -v[154:155]
	v_add_f64 v[28:29], v[152:153], -v[158:159]
	v_add_f64 v[42:43], v[144:145], v[148:149]
	v_add_f64 v[38:39], v[144:145], -v[146:147]
	v_add_f64 v[40:41], v[148:149], -v[142:143]
	v_add_f64 v[50:51], v[134:135], v[136:137]
	v_fma_f64 v[76:77], v[76:77], v[48:49], -v[196:197]
	v_add_f64 v[104:105], v[130:131], v[140:141]
	v_fma_f64 v[8:9], v[66:67], v[44:45], -v[46:47]
	v_add_f64 v[44:45], v[146:147], -v[144:145]
	v_add_f64 v[46:47], v[142:143], -v[148:149]
	v_add_f64 v[188:189], v[124:125], v[126:127]
	v_add_f64 v[198:199], v[106:107], v[128:129]
	;; [unrolled: 1-line block ×4, first 2 shown]
	v_fma_f64 v[70:71], v[70:71], v[52:53], -v[54:55]
	v_add_f64 v[12:13], v[98:99], v[154:155]
	v_add_f64 v[16:17], v[150:151], -v[88:89]
	v_add_f64 v[184:185], v[134:135], -v[130:131]
	;; [unrolled: 1-line block ×3, first 2 shown]
	v_fma_f64 v[14:15], v[14:15], -0.5, v[98:99]
	v_add_f64 v[18:19], v[90:91], -v[122:123]
	v_fma_f64 v[24:25], v[24:25], -0.5, v[98:99]
	v_add_f64 v[30:31], v[96:97], v[144:145]
	v_add_f64 v[34:35], v[138:139], -v[10:11]
	v_add_f64 v[194:195], v[106:107], -v[124:125]
	;; [unrolled: 1-line block ×3, first 2 shown]
	v_add_f64 v[20:21], v[20:21], v[22:23]
	v_fma_f64 v[22:23], v[32:33], -0.5, v[96:97]
	v_add_f64 v[36:37], v[84:85], -v[92:93]
	v_add_f64 v[26:27], v[26:27], v[28:29]
	v_fma_f64 v[28:29], v[42:43], -0.5, v[96:97]
	v_add_f64 v[48:49], v[4:5], v[130:131]
	v_add_f64 v[52:53], v[94:95], -v[58:59]
	v_add_f64 v[32:33], v[38:39], v[40:41]
	v_fma_f64 v[40:41], v[50:51], -0.5, v[4:5]
	v_add_f64 v[54:55], v[80:81], -v[76:77]
	v_add_f64 v[66:67], v[130:131], -v[134:135]
	;; [unrolled: 1-line block ×5, first 2 shown]
	v_fma_f64 v[4:5], v[104:105], -0.5, v[4:5]
	v_add_f64 v[190:191], v[86:87], -v[62:63]
	v_add_f64 v[220:221], v[0:1], v[106:107]
	v_add_f64 v[38:39], v[44:45], v[46:47]
	v_fma_f64 v[46:47], v[188:189], -0.5, v[0:1]
	v_add_f64 v[192:193], v[72:73], -v[68:69]
	v_add_f64 v[204:205], v[78:79], -v[74:75]
	;; [unrolled: 1-line block ×3, first 2 shown]
	v_fma_f64 v[0:1], v[198:199], -0.5, v[0:1]
	v_add_f64 v[218:219], v[64:65], -v[8:9]
	v_add_f64 v[222:223], v[100:101], v[78:79]
	v_fma_f64 v[96:97], v[208:209], -0.5, v[100:101]
	v_fma_f64 v[100:101], v[214:215], -0.5, v[100:101]
	v_add_f64 v[216:217], v[70:71], -v[56:57]
	v_add_f64 v[44:45], v[184:185], v[186:187]
	v_add_f64 v[12:13], v[12:13], v[156:157]
	v_fma_f64 v[186:187], v[16:17], s[6:7], v[14:15]
	v_fma_f64 v[14:15], v[16:17], s[14:15], v[14:15]
	v_fma_f64 v[188:189], v[18:19], s[14:15], v[24:25]
	v_fma_f64 v[24:25], v[18:19], s[6:7], v[24:25]
	v_add_f64 v[50:51], v[194:195], v[196:197]
	v_add_f64 v[30:31], v[30:31], v[146:147]
	v_fma_f64 v[194:195], v[34:35], s[6:7], v[22:23]
	v_fma_f64 v[22:23], v[34:35], s[14:15], v[22:23]
	;; [unrolled: 1-line block ×4, first 2 shown]
	v_add_f64 v[48:49], v[48:49], v[134:135]
	v_fma_f64 v[198:199], v[52:53], s[6:7], v[40:41]
	v_add_f64 v[42:43], v[66:67], v[102:103]
	v_add_f64 v[66:67], v[200:201], v[202:203]
	v_fma_f64 v[40:41], v[52:53], s[14:15], v[40:41]
	v_fma_f64 v[200:201], v[54:55], s[14:15], v[4:5]
	;; [unrolled: 1-line block ×3, first 2 shown]
	v_add_f64 v[102:103], v[220:221], v[124:125]
	v_fma_f64 v[202:203], v[190:191], s[6:7], v[46:47]
	v_add_f64 v[98:99], v[204:205], v[206:207]
	v_fma_f64 v[46:47], v[190:191], s[14:15], v[46:47]
	v_fma_f64 v[204:205], v[192:193], s[14:15], v[0:1]
	;; [unrolled: 1-line block ×3, first 2 shown]
	v_add_f64 v[184:185], v[222:223], v[74:75]
	v_fma_f64 v[208:209], v[218:219], s[6:7], v[100:101]
	v_add_f64 v[210:211], v[74:75], -v[78:79]
	v_add_f64 v[212:213], v[82:83], -v[60:61]
	v_fma_f64 v[206:207], v[216:217], s[14:15], v[96:97]
	v_fma_f64 v[96:97], v[216:217], s[6:7], v[96:97]
	v_fma_f64 v[100:101], v[218:219], s[14:15], v[100:101]
	v_add_f64 v[12:13], v[12:13], v[152:153]
	v_fma_f64 v[186:187], v[18:19], s[4:5], v[186:187]
	v_fma_f64 v[14:15], v[18:19], s[10:11], v[14:15]
	v_fma_f64 v[18:19], v[16:17], s[4:5], v[188:189]
	v_fma_f64 v[16:17], v[16:17], s[10:11], v[24:25]
	v_add_f64 v[30:31], v[30:31], v[142:143]
	v_fma_f64 v[24:25], v[36:37], s[4:5], v[194:195]
	;; [unrolled: 5-line block ×5, first 2 shown]
	v_add_f64 v[104:105], v[210:211], v[212:213]
	v_fma_f64 v[190:191], v[218:219], s[4:5], v[206:207]
	v_fma_f64 v[96:97], v[218:219], s[10:11], v[96:97]
	v_fma_f64 v[100:101], v[216:217], s[10:11], v[100:101]
	v_add_f64 v[12:13], v[12:13], v[158:159]
	v_fma_f64 v[186:187], v[20:21], s[16:17], v[186:187]
	v_fma_f64 v[14:15], v[20:21], s[16:17], v[14:15]
	v_fma_f64 v[20:21], v[26:27], s[16:17], v[18:19]
	v_fma_f64 v[26:27], v[26:27], s[16:17], v[16:17]
	v_add_f64 v[30:31], v[30:31], v[148:149]
	v_fma_f64 v[24:25], v[32:33], s[16:17], v[24:25]
	;; [unrolled: 5-line block ×5, first 2 shown]
	v_fma_f64 v[16:17], v[104:105], s[16:17], v[190:191]
	v_fma_f64 v[18:19], v[104:105], s[16:17], v[96:97]
	v_fma_f64 v[0:1], v[98:99], s[16:17], v[100:101]
	v_or_b32_e32 v50, v228, v183
	v_or_b32_e32 v51, v229, v183
	v_lshl_add_u32 v98, v230, 3, 0
	v_lshl_add_u32 v97, v231, 3, 0
	;; [unrolled: 1-line block ×5, first 2 shown]
	ds_write2_b64 v98, v[12:13], v[186:187] offset1:8
	ds_write2_b64 v98, v[20:21], v[26:27] offset0:16 offset1:24
	ds_write_b64 v98, v[14:15] offset:256
	ds_write2_b64 v97, v[30:31], v[24:25] offset1:8
	ds_write2_b64 v97, v[32:33], v[28:29] offset0:16 offset1:24
	ds_write_b64 v97, v[22:23] offset:256
	;; [unrolled: 3-line block ×5, first 2 shown]
	s_waitcnt lgkmcnt(0)
	s_barrier
	buffer_gl0_inv
	ds_read2_b64 v[12:15], v174 offset1:200
	ds_read2_b64 v[52:55], v112 offset0:144 offset1:200
	ds_read2_b64 v[36:39], v113 offset1:88
	ds_read2_b64 v[48:51], v111 offset0:32 offset1:88
	ds_read2_b64 v[28:31], v111 offset0:144 offset1:232
	;; [unrolled: 1-line block ×3, first 2 shown]
	ds_read2_b64 v[40:43], v112 offset1:56
	ds_read2_b64 v[32:35], v113 offset0:144 offset1:200
	ds_read2_b64 v[24:27], v110 offset0:32 offset1:88
	ds_read_b64 v[104:105], v176
	ds_read_b64 v[110:111], v175
	ds_read_b64 v[112:113], v174 offset:10496
                                        ; implicit-def: $vgpr22_vgpr23
	s_and_saveexec_b32 s1, s0
	s_cbranch_execz .LBB0_37
; %bb.36:
	v_add_nc_u32_e32 v0, 0xa00, v174
	v_add_nc_u32_e32 v1, 0x1800, v174
	;; [unrolled: 1-line block ×3, first 2 shown]
	ds_read_b64 v[102:103], v177
	ds_read2_b64 v[16:19], v0 offset0:48 offset1:248
	ds_read2_b64 v[0:3], v1 offset1:200
	ds_read2_b64 v[20:23], v4 offset0:16 offset1:216
.LBB0_37:
	s_or_b32 exec_lo, exec_lo, s1
	v_add_f64 v[4:5], v[90:91], v[122:123]
	v_add_f64 v[99:100], v[118:119], v[150:151]
	v_add_f64 v[154:155], v[154:155], -v[158:159]
	v_add_f64 v[183:184], v[150:151], v[88:89]
	v_add_f64 v[189:190], v[84:85], v[92:93]
	;; [unrolled: 1-line block ×4, first 2 shown]
	v_add_f64 v[152:153], v[156:157], -v[152:153]
	v_add_f64 v[156:157], v[150:151], -v[90:91]
	;; [unrolled: 1-line block ×3, first 2 shown]
	v_add_f64 v[197:198], v[80:81], v[76:77]
	v_add_f64 v[199:200], v[94:95], v[58:59]
	v_add_f64 v[144:145], v[144:145], -v[148:149]
	v_add_f64 v[142:143], v[146:147], -v[142:143]
	;; [unrolled: 1-line block ×4, first 2 shown]
	v_add_f64 v[205:206], v[72:73], v[68:69]
	v_add_f64 v[207:208], v[86:87], v[62:63]
	v_add_f64 v[150:151], v[90:91], -v[150:151]
	v_add_f64 v[185:186], v[122:123], -v[88:89]
	v_add_f64 v[209:210], v[70:71], v[56:57]
	v_add_f64 v[60:61], v[78:79], -v[60:61]
	v_fma_f64 v[4:5], v[4:5], -0.5, v[118:119]
	v_add_f64 v[90:91], v[99:100], v[90:91]
	v_add_f64 v[78:79], v[64:65], v[8:9]
	v_fma_f64 v[99:100], v[183:184], -0.5, v[118:119]
	v_fma_f64 v[183:184], v[189:190], -0.5, v[116:117]
	v_fma_f64 v[116:117], v[191:192], -0.5, v[116:117]
	v_add_f64 v[74:75], v[74:75], -v[82:83]
	v_add_f64 v[82:83], v[187:188], v[84:85]
	v_add_f64 v[138:139], v[84:85], -v[138:139]
	v_add_f64 v[195:196], v[114:115], v[94:95]
	;; [unrolled: 2-line block ×3, first 2 shown]
	v_fma_f64 v[156:157], v[197:198], -0.5, v[114:115]
	v_add_f64 v[134:135], v[134:135], -v[136:137]
	v_fma_f64 v[114:115], v[199:200], -0.5, v[114:115]
	v_add_f64 v[203:204], v[120:121], v[86:87]
	v_add_f64 v[106:107], v[106:107], -v[128:129]
	v_add_f64 v[189:190], v[108:109], v[64:65]
	v_add_f64 v[146:147], v[146:147], v[148:149]
	v_fma_f64 v[148:149], v[205:206], -0.5, v[120:121]
	v_add_f64 v[193:194], v[92:93], -v[10:11]
	v_add_f64 v[124:125], v[124:125], -v[126:127]
	v_fma_f64 v[191:192], v[154:155], s[14:15], v[4:5]
	v_fma_f64 v[4:5], v[154:155], s[6:7], v[4:5]
	v_fma_f64 v[120:121], v[207:208], -0.5, v[120:121]
	v_add_f64 v[150:151], v[150:151], v[185:186]
	v_fma_f64 v[158:159], v[209:210], -0.5, v[108:109]
	v_add_f64 v[90:91], v[90:91], v[122:123]
	v_fma_f64 v[122:123], v[152:153], s[6:7], v[99:100]
	v_fma_f64 v[185:186], v[144:145], s[14:15], v[183:184]
	;; [unrolled: 1-line block ×5, first 2 shown]
	v_fma_f64 v[78:79], v[78:79], -0.5, v[108:109]
	v_add_f64 v[82:83], v[82:83], v[92:93]
	v_fma_f64 v[92:93], v[142:143], s[14:15], v[116:117]
	v_add_f64 v[136:137], v[94:95], -v[80:81]
	v_add_f64 v[140:141], v[58:59], -v[76:77]
	;; [unrolled: 1-line block ×3, first 2 shown]
	v_add_f64 v[80:81], v[195:196], v[80:81]
	v_fma_f64 v[108:109], v[130:131], s[14:15], v[156:157]
	v_add_f64 v[201:202], v[76:77], -v[58:59]
	v_fma_f64 v[116:117], v[130:131], s[6:7], v[156:157]
	v_fma_f64 v[156:157], v[134:135], s[6:7], v[114:115]
	;; [unrolled: 1-line block ×5, first 2 shown]
	v_add_f64 v[126:127], v[86:87], -v[72:73]
	v_add_f64 v[128:129], v[62:63], -v[68:69]
	;; [unrolled: 1-line block ×3, first 2 shown]
	v_add_f64 v[72:73], v[203:204], v[72:73]
	v_add_f64 v[152:153], v[189:190], v[70:71]
	v_fma_f64 v[189:190], v[106:107], s[14:15], v[148:149]
	v_add_f64 v[118:119], v[68:69], -v[62:63]
	v_add_f64 v[138:139], v[138:139], v[193:194]
	v_fma_f64 v[193:194], v[124:125], s[6:7], v[120:121]
	v_fma_f64 v[120:121], v[124:125], s[14:15], v[120:121]
	;; [unrolled: 1-line block ×4, first 2 shown]
	v_add_f64 v[88:89], v[90:91], v[88:89]
	v_fma_f64 v[90:91], v[154:155], s[10:11], v[122:123]
	v_fma_f64 v[122:123], v[142:143], s[10:11], v[185:186]
	;; [unrolled: 1-line block ×3, first 2 shown]
	v_add_f64 v[185:186], v[8:9], -v[56:57]
	v_fma_f64 v[99:100], v[154:155], s[4:5], v[99:100]
	v_fma_f64 v[154:155], v[144:145], s[10:11], v[187:188]
	;; [unrolled: 1-line block ×4, first 2 shown]
	v_add_f64 v[4:5], v[64:65], -v[70:71]
	v_fma_f64 v[187:188], v[74:75], s[6:7], v[78:79]
	v_add_f64 v[64:65], v[70:71], -v[64:65]
	v_add_f64 v[70:71], v[56:57], -v[8:9]
	v_fma_f64 v[78:79], v[74:75], s[14:15], v[78:79]
	v_fma_f64 v[158:159], v[60:61], s[6:7], v[158:159]
	;; [unrolled: 1-line block ×3, first 2 shown]
	v_add_f64 v[76:77], v[80:81], v[76:77]
	v_fma_f64 v[80:81], v[134:135], s[10:11], v[108:109]
	v_add_f64 v[108:109], v[136:137], v[140:141]
	v_fma_f64 v[116:117], v[134:135], s[4:5], v[116:117]
	v_fma_f64 v[134:135], v[130:131], s[10:11], v[156:157]
	v_add_f64 v[94:95], v[94:95], v[201:202]
	v_fma_f64 v[114:115], v[130:131], s[4:5], v[114:115]
	v_add_f64 v[68:69], v[72:73], v[68:69]
	;; [unrolled: 2-line block ×4, first 2 shown]
	v_fma_f64 v[106:107], v[106:107], s[4:5], v[120:121]
	v_fma_f64 v[124:125], v[124:125], s[4:5], v[148:149]
	v_add_f64 v[56:57], v[152:153], v[56:57]
	v_fma_f64 v[118:119], v[74:75], s[10:11], v[195:196]
	v_add_f64 v[4:5], v[4:5], v[185:186]
	;; [unrolled: 2-line block ×3, first 2 shown]
	v_fma_f64 v[60:61], v[60:61], s[4:5], v[78:79]
	v_fma_f64 v[70:71], v[74:75], s[4:5], v[158:159]
	v_fma_f64 v[74:75], v[150:151], s[16:17], v[90:91]
	v_fma_f64 v[78:79], v[150:151], s[16:17], v[99:100]
	v_add_f64 v[10:11], v[82:83], v[10:11]
	v_fma_f64 v[82:83], v[146:147], s[16:17], v[122:123]
	v_fma_f64 v[122:123], v[138:139], s[16:17], v[154:155]
	v_fma_f64 v[92:93], v[138:139], s[16:17], v[92:93]
	v_fma_f64 v[90:91], v[146:147], s[16:17], v[142:143]
	v_add_f64 v[76:77], v[76:77], v[58:59]
	;; [unrolled: 5-line block ×4, first 2 shown]
	v_fma_f64 v[100:101], v[4:5], s[16:17], v[118:119]
	v_fma_f64 v[56:57], v[64:65], s[16:17], v[120:121]
	;; [unrolled: 1-line block ×4, first 2 shown]
	v_add_nc_u32_e32 v61, 0x800, v174
	s_waitcnt lgkmcnt(0)
	s_barrier
	buffer_gl0_inv
	ds_write2_b64 v98, v[88:89], v[183:184] offset1:8
	ds_write2_b64 v98, v[74:75], v[78:79] offset0:16 offset1:24
	ds_write_b64 v98, v[84:85] offset:256
	ds_write2_b64 v97, v[10:11], v[82:83] offset1:8
	ds_write2_b64 v97, v[122:123], v[92:93] offset0:16 offset1:24
	ds_write_b64 v97, v[90:91] offset:256
	;; [unrolled: 3-line block ×5, first 2 shown]
	v_add_nc_u32_e32 v62, 0x1000, v174
	v_add_nc_u32_e32 v60, 0x1800, v174
	;; [unrolled: 1-line block ×3, first 2 shown]
	s_waitcnt lgkmcnt(0)
	s_barrier
	buffer_gl0_inv
	ds_read2_b64 v[8:11], v174 offset1:200
	ds_read2_b64 v[92:95], v61 offset0:144 offset1:200
	ds_read2_b64 v[76:79], v62 offset1:88
	ds_read2_b64 v[88:91], v60 offset0:32 offset1:88
	ds_read2_b64 v[68:71], v60 offset0:144 offset1:232
	;; [unrolled: 1-line block ×3, first 2 shown]
	ds_read2_b64 v[80:83], v61 offset1:56
	ds_read2_b64 v[72:75], v62 offset0:144 offset1:200
	ds_read2_b64 v[64:67], v63 offset0:32 offset1:88
	ds_read_b64 v[106:107], v176
	ds_read_b64 v[108:109], v175
	ds_read_b64 v[134:135], v174 offset:10496
                                        ; implicit-def: $vgpr62_vgpr63
	s_and_saveexec_b32 s1, s0
	s_cbranch_execz .LBB0_39
; %bb.38:
	v_add_nc_u32_e32 v56, 0xa00, v174
	v_add_nc_u32_e32 v61, 0x2400, v174
	ds_read_b64 v[100:101], v177
	ds_read2_b64 v[4:7], v60 offset1:200
	ds_read2_b64 v[56:59], v56 offset0:48 offset1:248
	ds_read2_b64 v[60:63], v61 offset0:16 offset1:216
.LBB0_39:
	s_or_b32 exec_lo, exec_lo, s1
	v_subrev_nc_u32_e32 v96, 40, v161
	v_cmp_gt_u32_e64 s1, 40, v161
	v_mov_b32_e32 v97, 0
	v_mov_b32_e32 v157, 6
	s_mov_b32 s16, 0x37e14327
	s_mov_b32 s18, 0xe976ee23
	v_cndmask_b32_e64 v136, v96, v161, s1
	s_mov_b32 s17, 0x3fe948f6
	s_mov_b32 s19, 0x3fe11646
	;; [unrolled: 1-line block ×4, first 2 shown]
	v_mul_i32_i24_e32 v96, 6, v136
	s_mov_b32 s14, 0xb247c609
	s_mov_b32 s11, 0x3fac98ee
	;; [unrolled: 1-line block ×4, first 2 shown]
	v_lshlrev_b64 v[96:97], 4, v[96:97]
	s_mov_b32 s4, 0x37c3f68c
	s_mov_b32 s5, 0xbfdc38aa
	;; [unrolled: 1-line block ×5, first 2 shown]
	v_add_co_u32 v118, s1, s8, v96
	v_add_co_ci_u32_e64 v119, s1, s9, v97, s1
	v_cmp_lt_u32_e64 s1, 39, v161
	s_mov_b32 s23, 0x3fd5d0dc
	s_clause 0x1
	global_load_dwordx4 v[96:99], v[118:119], off offset:624
	global_load_dwordx4 v[141:144], v[118:119], off offset:608
	s_mov_b32 s22, s14
	s_mov_b32 s25, 0x3fe77f67
	;; [unrolled: 1-line block ×4, first 2 shown]
	s_waitcnt vmcnt(1) lgkmcnt(10)
	v_mul_f64 v[114:115], v[92:93], v[98:99]
	v_fma_f64 v[114:115], v[52:53], v[96:97], v[114:115]
	v_mul_f64 v[52:53], v[52:53], v[98:99]
	v_fma_f64 v[124:125], v[92:93], v[96:97], -v[52:53]
	v_and_b32_e32 v52, 0xff, v172
	v_mul_lo_u16 v52, 0xcd, v52
	v_lshrrev_b16 v140, 13, v52
	v_mul_lo_u16 v52, v140, 40
	v_sub_nc_u16 v139, v172, v52
	v_mul_u32_u24_sdwa v52, v139, v157 dst_sel:DWORD dst_unused:UNUSED_PAD src0_sel:BYTE_0 src1_sel:DWORD
	v_lshlrev_b32_e32 v126, 4, v52
	s_clause 0x1
	global_load_dwordx4 v[96:99], v126, s[8:9] offset:624
	global_load_dwordx4 v[120:123], v126, s[8:9] offset:608
	s_waitcnt vmcnt(1)
	v_mul_f64 v[52:53], v[94:95], v[98:99]
	v_fma_f64 v[92:93], v[54:55], v[96:97], v[52:53]
	v_mul_f64 v[52:53], v[54:55], v[98:99]
	v_fma_f64 v[116:117], v[94:95], v[96:97], -v[52:53]
	s_clause 0x1
	global_load_dwordx4 v[52:55], v[118:119], off offset:656
	global_load_dwordx4 v[145:148], v[118:119], off offset:640
	s_waitcnt vmcnt(1) lgkmcnt(8)
	v_mul_f64 v[94:95], v[88:89], v[54:55]
	v_fma_f64 v[94:95], v[48:49], v[52:53], v[94:95]
	v_mul_f64 v[48:49], v[48:49], v[54:55]
	v_fma_f64 v[96:97], v[88:89], v[52:53], -v[48:49]
	s_clause 0x1
	global_load_dwordx4 v[52:55], v126, s[8:9] offset:656
	global_load_dwordx4 v[149:152], v126, s[8:9] offset:640
	s_waitcnt vmcnt(1)
	v_mul_f64 v[48:49], v[90:91], v[54:55]
	v_fma_f64 v[88:89], v[50:51], v[52:53], v[48:49]
	v_mul_f64 v[48:49], v[50:51], v[54:55]
	v_fma_f64 v[90:91], v[90:91], v[52:53], -v[48:49]
	s_clause 0x1
	global_load_dwordx4 v[48:51], v[118:119], off offset:688
	global_load_dwordx4 v[52:55], v[118:119], off offset:672
	s_waitcnt vmcnt(1) lgkmcnt(6)
	v_mul_f64 v[98:99], v[84:85], v[50:51]
	v_fma_f64 v[98:99], v[44:45], v[48:49], v[98:99]
	v_mul_f64 v[44:45], v[44:45], v[50:51]
	v_fma_f64 v[130:131], v[84:85], v[48:49], -v[44:45]
	s_clause 0x1
	global_load_dwordx4 v[48:51], v126, s[8:9] offset:688
	global_load_dwordx4 v[153:156], v126, s[8:9] offset:672
	s_waitcnt vmcnt(1)
	v_mul_f64 v[44:45], v[86:87], v[50:51]
	v_fma_f64 v[84:85], v[46:47], v[48:49], v[44:45]
	v_mul_f64 v[44:45], v[46:47], v[50:51]
	v_fma_f64 v[126:127], v[86:87], v[48:49], -v[44:45]
	s_waitcnt lgkmcnt(5)
	v_mul_f64 v[44:45], v[80:81], v[122:123]
	v_fma_f64 v[86:87], v[40:41], v[120:121], v[44:45]
	v_mul_f64 v[40:41], v[40:41], v[122:123]
	v_fma_f64 v[128:129], v[80:81], v[120:121], -v[40:41]
	v_and_b32_e32 v40, 0xff, v173
	v_mul_lo_u16 v40, 0xcd, v40
	v_lshrrev_b16 v138, 13, v40
	v_mul_lo_u16 v40, v138, 40
	v_sub_nc_u16 v137, v173, v40
	v_mul_u32_u24_sdwa v40, v137, v157 dst_sel:DWORD dst_unused:UNUSED_PAD src0_sel:BYTE_0 src1_sel:DWORD
	v_lshlrev_b32_e32 v157, 4, v40
	s_clause 0x1
	global_load_dwordx4 v[44:47], v157, s[8:9] offset:608
	global_load_dwordx4 v[48:51], v157, s[8:9] offset:624
	s_waitcnt vmcnt(1)
	v_mul_f64 v[40:41], v[82:83], v[46:47]
	v_fma_f64 v[80:81], v[42:43], v[44:45], v[40:41]
	v_mul_f64 v[40:41], v[42:43], v[46:47]
	v_fma_f64 v[118:119], v[82:83], v[44:45], -v[40:41]
	v_mul_f64 v[40:41], v[78:79], v[147:148]
	v_fma_f64 v[82:83], v[38:39], v[145:146], v[40:41]
	v_mul_f64 v[38:39], v[38:39], v[147:148]
	v_fma_f64 v[120:121], v[78:79], v[145:146], -v[38:39]
	s_waitcnt vmcnt(0)
	v_mul_f64 v[38:39], v[76:77], v[50:51]
	v_fma_f64 v[78:79], v[36:37], v[48:49], v[38:39]
	v_mul_f64 v[36:37], v[36:37], v[50:51]
	v_fma_f64 v[122:123], v[76:77], v[48:49], -v[36:37]
	s_waitcnt lgkmcnt(4)
	v_mul_f64 v[36:37], v[72:73], v[151:152]
	v_fma_f64 v[76:77], v[32:33], v[149:150], v[36:37]
	s_clause 0x1
	global_load_dwordx4 v[36:39], v157, s[8:9] offset:640
	global_load_dwordx4 v[40:43], v157, s[8:9] offset:656
	v_mul_f64 v[32:33], v[32:33], v[151:152]
	v_fma_f64 v[72:73], v[72:73], v[149:150], -v[32:33]
	s_waitcnt vmcnt(1)
	v_mul_f64 v[32:33], v[74:75], v[38:39]
	v_fma_f64 v[32:33], v[34:35], v[36:37], v[32:33]
	v_mul_f64 v[34:35], v[34:35], v[38:39]
	v_fma_f64 v[34:35], v[74:75], v[36:37], -v[34:35]
	v_mul_f64 v[36:37], v[70:71], v[54:55]
	v_fma_f64 v[74:75], v[30:31], v[52:53], v[36:37]
	v_mul_f64 v[30:31], v[30:31], v[54:55]
	s_waitcnt lgkmcnt(3)
	v_mul_f64 v[36:37], v[64:65], v[155:156]
	v_fma_f64 v[70:71], v[70:71], v[52:53], -v[30:31]
	s_waitcnt vmcnt(0)
	v_mul_f64 v[30:31], v[68:69], v[42:43]
	v_fma_f64 v[30:31], v[28:29], v[40:41], v[30:31]
	v_mul_f64 v[28:29], v[28:29], v[42:43]
	v_fma_f64 v[28:29], v[68:69], v[40:41], -v[28:29]
	v_fma_f64 v[68:69], v[24:25], v[153:154], v[36:37]
	s_clause 0x1
	global_load_dwordx4 v[36:39], v157, s[8:9] offset:672
	global_load_dwordx4 v[145:148], v157, s[8:9] offset:688
	v_mul_f64 v[24:25], v[24:25], v[155:156]
	v_fma_f64 v[64:65], v[64:65], v[153:154], -v[24:25]
	s_waitcnt vmcnt(1)
	v_mul_f64 v[24:25], v[66:67], v[38:39]
	v_fma_f64 v[24:25], v[26:27], v[36:37], v[24:25]
	v_mul_f64 v[26:27], v[26:27], v[38:39]
	v_fma_f64 v[26:27], v[66:67], v[36:37], -v[26:27]
	v_and_b32_e32 v36, 0xff, v178
	v_mov_b32_e32 v67, 0x8c0
	v_mul_lo_u16 v36, 0xcd, v36
	v_lshrrev_b16 v36, 13, v36
	v_mul_lo_u16 v36, v36, 40
	v_sub_nc_u16 v36, v178, v36
	v_and_b32_e32 v66, 0xff, v36
	v_mul_u32_u24_e32 v36, 6, v66
	v_lshlrev_b32_e32 v54, 4, v36
	s_clause 0x1
	global_load_dwordx4 v[38:41], v54, s[8:9] offset:608
	global_load_dwordx4 v[42:45], v54, s[8:9] offset:624
	s_waitcnt vmcnt(1) lgkmcnt(1)
	v_mul_f64 v[36:37], v[56:57], v[40:41]
	v_fma_f64 v[36:37], v[16:17], v[38:39], v[36:37]
	v_mul_f64 v[16:17], v[16:17], v[40:41]
	v_fma_f64 v[40:41], v[56:57], v[38:39], -v[16:17]
	s_waitcnt vmcnt(0)
	v_mul_f64 v[16:17], v[58:59], v[44:45]
	v_fma_f64 v[38:39], v[18:19], v[42:43], v[16:17]
	v_mul_f64 v[16:17], v[18:19], v[44:45]
	v_fma_f64 v[42:43], v[58:59], v[42:43], -v[16:17]
	s_clause 0x1
	global_load_dwordx4 v[16:19], v54, s[8:9] offset:640
	global_load_dwordx4 v[50:53], v54, s[8:9] offset:656
	s_waitcnt vmcnt(1)
	v_mul_f64 v[44:45], v[4:5], v[18:19]
	v_fma_f64 v[44:45], v[0:1], v[16:17], v[44:45]
	v_mul_f64 v[0:1], v[0:1], v[18:19]
	v_fma_f64 v[46:47], v[4:5], v[16:17], -v[0:1]
	s_waitcnt vmcnt(0)
	v_mul_f64 v[0:1], v[6:7], v[52:53]
	v_fma_f64 v[48:49], v[2:3], v[50:51], v[0:1]
	v_mul_f64 v[0:1], v[2:3], v[52:53]
	v_fma_f64 v[50:51], v[6:7], v[50:51], -v[0:1]
	s_clause 0x1
	global_load_dwordx4 v[0:3], v54, s[8:9] offset:672
	global_load_dwordx4 v[4:7], v54, s[8:9] offset:688
	s_waitcnt vmcnt(0) lgkmcnt(0)
	s_barrier
	buffer_gl0_inv
	v_mul_f64 v[16:17], v[60:61], v[2:3]
	v_mul_f64 v[2:3], v[20:21], v[2:3]
	v_fma_f64 v[52:53], v[20:21], v[0:1], v[16:17]
	v_fma_f64 v[56:57], v[60:61], v[0:1], -v[2:3]
	v_mul_f64 v[0:1], v[62:63], v[6:7]
	v_mul_f64 v[2:3], v[112:113], v[147:148]
	v_lshlrev_b32_e32 v20, 3, v136
	v_cndmask_b32_e64 v21, 0, 0x8c0, s1
	v_add_f64 v[16:17], v[82:83], v[94:95]
	v_mov_b32_e32 v136, 3
	v_fma_f64 v[54:55], v[22:23], v[4:5], v[0:1]
	v_mul_f64 v[0:1], v[22:23], v[6:7]
	v_mul_f64 v[6:7], v[14:15], v[143:144]
	v_add_f64 v[22:23], v[96:97], -v[120:121]
	v_fma_f64 v[58:59], v[62:63], v[4:5], -v[0:1]
	v_fma_f64 v[4:5], v[134:135], v[145:146], -v[2:3]
	v_mul_f64 v[2:3], v[10:11], v[143:144]
	v_mul_f64 v[0:1], v[134:135], v[147:148]
	v_fma_f64 v[6:7], v[10:11], v[141:142], -v[6:7]
	v_fma_f64 v[2:3], v[14:15], v[141:142], v[2:3]
	v_add_f64 v[14:15], v[114:115], v[74:75]
	v_fma_f64 v[0:1], v[112:113], v[145:146], v[0:1]
	v_add3_u32 v112, 0, v21, v20
	v_add_f64 v[20:21], v[124:125], -v[70:71]
	v_add_f64 v[60:61], v[6:7], -v[130:131]
	v_add_f64 v[10:11], v[2:3], v[98:99]
	v_add_f64 v[62:63], v[22:23], -v[20:21]
	v_add_f64 v[134:135], v[22:23], v[20:21]
	;; [unrolled: 2-line block ×3, first 2 shown]
	v_add_f64 v[141:142], v[10:11], -v[16:17]
	v_add_f64 v[10:11], v[14:15], -v[10:11]
	v_mul_f64 v[62:63], v[62:63], s[18:19]
	v_add_f64 v[134:135], v[134:135], v[60:61]
	v_add_f64 v[18:19], v[16:17], v[18:19]
	v_add_f64 v[16:17], v[16:17], -v[14:15]
	v_mul_f64 v[141:142], v[141:142], s[16:17]
	v_fma_f64 v[143:144], v[22:23], s[14:15], v[62:63]
	v_add_f64 v[12:13], v[12:13], v[18:19]
	v_fma_f64 v[145:146], v[16:17], s[10:11], v[141:142]
	v_mul_f64 v[16:17], v[16:17], s[10:11]
	v_fma_f64 v[143:144], v[134:135], s[4:5], v[143:144]
	v_fma_f64 v[18:19], v[18:19], s[6:7], v[12:13]
	v_add_f64 v[145:146], v[145:146], v[18:19]
	v_add_f64 v[147:148], v[143:144], v[145:146]
	ds_write2_b64 v112, v[12:13], v[147:148] offset1:40
	v_add_f64 v[12:13], v[20:21], -v[60:61]
	v_fma_f64 v[20:21], v[10:11], s[26:27], -v[141:142]
	v_fma_f64 v[10:11], v[10:11], s[24:25], -v[16:17]
	;; [unrolled: 1-line block ×3, first 2 shown]
	v_mul_f64 v[12:13], v[12:13], s[20:21]
	v_add_f64 v[16:17], v[20:21], v[18:19]
	v_add_f64 v[10:11], v[10:11], v[18:19]
	v_fma_f64 v[14:15], v[134:135], s[4:5], v[14:15]
	v_fma_f64 v[12:13], v[22:23], s[22:23], -v[12:13]
	v_add_f64 v[22:23], v[128:129], -v[126:127]
	v_add_f64 v[20:21], v[10:11], -v[14:15]
	v_fma_f64 v[12:13], v[134:135], s[4:5], v[12:13]
	v_add_f64 v[10:11], v[14:15], v[10:11]
	v_add_f64 v[14:15], v[76:77], v[88:89]
	v_add_f64 v[18:19], v[12:13], v[16:17]
	v_add_f64 v[12:13], v[16:17], -v[12:13]
	ds_write2_b64 v112, v[18:19], v[20:21] offset0:80 offset1:120
	ds_write2_b64 v112, v[10:11], v[12:13] offset0:160 offset1:200
	v_add_f64 v[10:11], v[145:146], -v[143:144]
	v_add_f64 v[12:13], v[92:93], v[68:69]
	v_add_f64 v[18:19], v[116:117], -v[64:65]
	v_add_f64 v[20:21], v[90:91], -v[72:73]
	ds_write_b64 v112, v[10:11] offset:1920
	v_mul_u32_u24_sdwa v10, v140, v67 dst_sel:DWORD dst_unused:UNUSED_PAD src0_sel:WORD_0 src1_sel:DWORD
	v_lshlrev_b32_sdwa v11, v136, v139 dst_sel:DWORD dst_unused:UNUSED_PAD src0_sel:DWORD src1_sel:BYTE_0
	v_add_f64 v[60:61], v[20:21], -v[18:19]
	v_add_f64 v[62:63], v[20:21], v[18:19]
	v_add_f64 v[18:19], v[18:19], -v[22:23]
	v_add_f64 v[20:21], v[22:23], -v[20:21]
	v_add3_u32 v113, 0, v10, v11
	v_add_f64 v[10:11], v[86:87], v[84:85]
	v_mul_f64 v[60:61], v[60:61], s[18:19]
	v_add_f64 v[62:63], v[62:63], v[22:23]
	v_add_f64 v[22:23], v[118:119], -v[4:5]
	v_add_f64 v[16:17], v[12:13], v[10:11]
	v_add_f64 v[134:135], v[10:11], -v[14:15]
	v_add_f64 v[10:11], v[12:13], -v[10:11]
	v_fma_f64 v[139:140], v[20:21], s[14:15], v[60:61]
	v_add_f64 v[16:17], v[14:15], v[16:17]
	v_add_f64 v[14:15], v[14:15], -v[12:13]
	v_mul_f64 v[134:135], v[134:135], s[16:17]
	v_fma_f64 v[12:13], v[18:19], s[20:21], -v[60:61]
	v_mul_f64 v[18:19], v[18:19], s[20:21]
	v_fma_f64 v[139:140], v[62:63], s[4:5], v[139:140]
	v_add_f64 v[110:111], v[110:111], v[16:17]
	v_fma_f64 v[141:142], v[14:15], s[10:11], v[134:135]
	v_mul_f64 v[14:15], v[14:15], s[10:11]
	v_fma_f64 v[18:19], v[20:21], s[22:23], -v[18:19]
	v_fma_f64 v[20:21], v[10:11], s[26:27], -v[134:135]
	v_fma_f64 v[12:13], v[62:63], s[4:5], v[12:13]
	v_fma_f64 v[16:17], v[16:17], s[6:7], v[110:111]
	v_fma_f64 v[10:11], v[10:11], s[24:25], -v[14:15]
	v_fma_f64 v[14:15], v[62:63], s[4:5], v[18:19]
	v_add_f64 v[18:19], v[20:21], v[16:17]
	v_add_f64 v[141:142], v[141:142], v[16:17]
	;; [unrolled: 1-line block ×5, first 2 shown]
	v_add_f64 v[20:21], v[10:11], -v[12:13]
	v_add_f64 v[10:11], v[12:13], v[10:11]
	v_add_f64 v[12:13], v[18:19], -v[14:15]
	v_add_f64 v[14:15], v[32:33], v[30:31]
	v_add_f64 v[18:19], v[122:123], -v[26:27]
	ds_write2_b64 v113, v[110:111], v[143:144] offset1:40
	ds_write2_b64 v113, v[16:17], v[20:21] offset0:80 offset1:120
	v_add_f64 v[20:21], v[28:29], -v[34:35]
	ds_write2_b64 v113, v[10:11], v[12:13] offset0:160 offset1:200
	v_add_f64 v[10:11], v[141:142], -v[139:140]
	v_add_f64 v[12:13], v[78:79], v[24:25]
	v_add_f64 v[60:61], v[20:21], -v[18:19]
	v_add_f64 v[62:63], v[20:21], v[18:19]
	ds_write_b64 v113, v[10:11] offset:1920
	v_mul_u32_u24_sdwa v10, v138, v67 dst_sel:DWORD dst_unused:UNUSED_PAD src0_sel:WORD_0 src1_sel:DWORD
	v_lshlrev_b32_sdwa v11, v136, v137 dst_sel:DWORD dst_unused:UNUSED_PAD src0_sel:DWORD src1_sel:BYTE_0
	v_add_f64 v[18:19], v[18:19], -v[22:23]
	v_add_f64 v[20:21], v[22:23], -v[20:21]
	v_add3_u32 v110, 0, v10, v11
	v_add_f64 v[10:11], v[80:81], v[0:1]
	v_mul_f64 v[60:61], v[60:61], s[18:19]
	v_add_f64 v[62:63], v[62:63], v[22:23]
	v_add_f64 v[16:17], v[12:13], v[10:11]
	v_add_f64 v[134:135], v[10:11], -v[14:15]
	v_add_f64 v[10:11], v[12:13], -v[10:11]
	v_fma_f64 v[136:137], v[20:21], s[14:15], v[60:61]
	v_add_f64 v[16:17], v[14:15], v[16:17]
	v_add_f64 v[14:15], v[14:15], -v[12:13]
	v_mul_f64 v[134:135], v[134:135], s[16:17]
	v_fma_f64 v[12:13], v[18:19], s[20:21], -v[60:61]
	v_mul_f64 v[18:19], v[18:19], s[20:21]
	v_fma_f64 v[136:137], v[62:63], s[4:5], v[136:137]
	v_add_f64 v[104:105], v[104:105], v[16:17]
	v_fma_f64 v[138:139], v[14:15], s[10:11], v[134:135]
	v_mul_f64 v[14:15], v[14:15], s[10:11]
	v_fma_f64 v[18:19], v[20:21], s[22:23], -v[18:19]
	v_fma_f64 v[20:21], v[10:11], s[26:27], -v[134:135]
	v_fma_f64 v[12:13], v[62:63], s[4:5], v[12:13]
	v_fma_f64 v[16:17], v[16:17], s[6:7], v[104:105]
	v_fma_f64 v[10:11], v[10:11], s[24:25], -v[14:15]
	v_fma_f64 v[14:15], v[62:63], s[4:5], v[18:19]
	v_add_f64 v[18:19], v[20:21], v[16:17]
	v_add_f64 v[138:139], v[138:139], v[16:17]
	;; [unrolled: 1-line block ×5, first 2 shown]
	v_add_f64 v[20:21], v[10:11], -v[12:13]
	v_add_f64 v[10:11], v[12:13], v[10:11]
	v_add_f64 v[12:13], v[18:19], -v[14:15]
	ds_write2_b64 v110, v[104:105], v[140:141] offset1:40
	v_lshl_add_u32 v104, v66, 3, 0
	ds_write2_b64 v110, v[16:17], v[20:21] offset0:80 offset1:120
	ds_write2_b64 v110, v[10:11], v[12:13] offset0:160 offset1:200
	v_add_f64 v[10:11], v[138:139], -v[136:137]
	ds_write_b64 v110, v[10:11] offset:1920
	s_and_saveexec_b32 s1, s0
	s_cbranch_execz .LBB0_41
; %bb.40:
	v_add_f64 v[10:11], v[36:37], v[54:55]
	v_add_f64 v[12:13], v[38:39], v[52:53]
	v_add_f64 v[14:15], v[50:51], -v[46:47]
	v_add_f64 v[16:17], v[42:43], -v[56:57]
	v_add_f64 v[18:19], v[44:45], v[48:49]
	v_add_f64 v[20:21], v[40:41], -v[58:59]
	v_add_f64 v[22:23], v[12:13], v[10:11]
	v_add_f64 v[60:61], v[14:15], -v[16:17]
	v_add_f64 v[62:63], v[10:11], -v[18:19]
	;; [unrolled: 1-line block ×4, first 2 shown]
	v_add_f64 v[14:15], v[14:15], v[16:17]
	v_add_f64 v[10:11], v[12:13], -v[10:11]
	v_add_f64 v[22:23], v[18:19], v[22:23]
	v_add_f64 v[18:19], v[18:19], -v[12:13]
	v_mul_f64 v[12:13], v[60:61], s[18:19]
	v_mul_f64 v[16:17], v[62:63], s[16:17]
	;; [unrolled: 1-line block ×3, first 2 shown]
	v_add_f64 v[14:15], v[14:15], v[20:21]
	v_add_f64 v[62:63], v[102:103], v[22:23]
	v_mul_f64 v[102:103], v[18:19], s[10:11]
	v_fma_f64 v[20:21], v[134:135], s[14:15], v[12:13]
	v_fma_f64 v[136:137], v[10:11], s[26:27], -v[16:17]
	v_fma_f64 v[16:17], v[18:19], s[10:11], v[16:17]
	v_fma_f64 v[60:61], v[134:135], s[22:23], -v[60:61]
	v_fma_f64 v[12:13], v[66:67], s[20:21], -v[12:13]
	v_fma_f64 v[22:23], v[22:23], s[6:7], v[62:63]
	v_fma_f64 v[10:11], v[10:11], s[24:25], -v[102:103]
	v_fma_f64 v[18:19], v[14:15], s[4:5], v[20:21]
	v_fma_f64 v[20:21], v[14:15], s[4:5], v[60:61]
	v_fma_f64 v[12:13], v[14:15], s[4:5], v[12:13]
	v_add_f64 v[16:17], v[16:17], v[22:23]
	v_add_f64 v[14:15], v[136:137], v[22:23]
	;; [unrolled: 1-line block ×4, first 2 shown]
	v_add_f64 v[22:23], v[14:15], -v[20:21]
	v_add_f64 v[60:61], v[10:11], -v[12:13]
	v_add_f64 v[14:15], v[20:21], v[14:15]
	v_add_f64 v[10:11], v[12:13], v[10:11]
	v_add_f64 v[12:13], v[16:17], -v[18:19]
	v_add_nc_u32_e32 v16, 0x2000, v104
	v_add_nc_u32_e32 v17, 0x2800, v104
	ds_write2_b64 v16, v[62:63], v[66:67] offset0:96 offset1:136
	ds_write2_b64 v16, v[14:15], v[60:61] offset0:176 offset1:216
	ds_write2_b64 v17, v[10:11], v[22:23] offset1:40
	ds_write_b64 v104, v[12:13] offset:10880
.LBB0_41:
	s_or_b32 exec_lo, exec_lo, s1
	v_add_f64 v[6:7], v[6:7], v[130:131]
	v_add_f64 v[10:11], v[124:125], v[70:71]
	;; [unrolled: 1-line block ×7, first 2 shown]
	v_add_f64 v[20:21], v[114:115], -v[74:75]
	v_add_f64 v[22:23], v[94:95], -v[82:83]
	;; [unrolled: 1-line block ×4, first 2 shown]
	v_add_f64 v[60:61], v[72:73], v[90:91]
	v_add_f64 v[62:63], v[92:93], -v[68:69]
	v_add_f64 v[64:65], v[88:89], -v[76:77]
	;; [unrolled: 1-line block ×4, first 2 shown]
	v_add_f64 v[28:29], v[34:35], v[28:29]
	v_add_f64 v[30:31], v[30:31], -v[32:33]
	v_add_nc_u32_e32 v111, 0x1800, v174
	v_add_nc_u32_e32 v114, 0x2000, v174
	v_add_nc_u32_e32 v126, 0x800, v174
	s_waitcnt lgkmcnt(0)
	s_barrier
	v_add_f64 v[66:67], v[10:11], v[6:7]
	buffer_gl0_inv
	v_add_f64 v[32:33], v[14:15], v[12:13]
	ds_read_b64 v[68:69], v182
	v_add_f64 v[34:35], v[16:17], v[4:5]
	v_add_f64 v[70:71], v[6:7], -v[18:19]
	v_add_f64 v[72:73], v[18:19], -v[10:11]
	;; [unrolled: 1-line block ×8, first 2 shown]
	v_add_f64 v[10:11], v[22:23], v[20:21]
	v_add_f64 v[20:21], v[62:63], -v[26:27]
	v_add_f64 v[62:63], v[64:65], v[62:63]
	v_add_f64 v[84:85], v[30:31], -v[24:25]
	v_add_f64 v[86:87], v[24:25], -v[0:1]
	;; [unrolled: 1-line block ×3, first 2 shown]
	v_add_f64 v[24:25], v[30:31], v[24:25]
	v_add_f64 v[12:13], v[14:15], -v[12:13]
	v_add_f64 v[64:65], v[26:27], -v[64:65]
	v_add_f64 v[18:19], v[18:19], v[66:67]
	v_add_f64 v[66:67], v[4:5], -v[28:29]
	v_add_f64 v[32:33], v[60:61], v[32:33]
	;; [unrolled: 2-line block ×3, first 2 shown]
	v_mul_f64 v[34:35], v[70:71], s[16:17]
	v_mul_f64 v[70:71], v[72:73], s[10:11]
	;; [unrolled: 1-line block ×4, first 2 shown]
	v_add_f64 v[4:5], v[16:17], -v[4:5]
	v_mul_f64 v[78:79], v[78:79], s[16:17]
	v_mul_f64 v[88:89], v[80:81], s[10:11]
	;; [unrolled: 1-line block ×3, first 2 shown]
	v_add_f64 v[2:3], v[10:11], v[2:3]
	v_mul_f64 v[16:17], v[20:21], s[20:21]
	v_add_f64 v[10:11], v[62:63], v[26:27]
	v_add_nc_u32_e32 v115, 0x1000, v174
	v_mul_f64 v[26:27], v[86:87], s[20:21]
	v_add_nc_u32_e32 v127, 0x2800, v174
	v_add_f64 v[90:91], v[8:9], v[18:19]
	v_add_f64 v[8:9], v[0:1], -v[30:31]
	v_mul_f64 v[30:31], v[66:67], s[16:17]
	v_mul_f64 v[66:67], v[84:85], s[18:19]
	v_add_f64 v[84:85], v[108:109], v[32:33]
	v_mul_f64 v[92:93], v[60:61], s[10:11]
	v_add_f64 v[94:95], v[106:107], v[28:29]
	v_add_f64 v[0:1], v[24:25], v[0:1]
	v_fma_f64 v[24:25], v[72:73], s[10:11], v[34:35]
	v_fma_f64 v[70:71], v[6:7], s[24:25], -v[70:71]
	v_fma_f64 v[6:7], v[6:7], s[26:27], -v[34:35]
	v_fma_f64 v[34:35], v[22:23], s[14:15], v[14:15]
	v_fma_f64 v[14:15], v[76:77], s[20:21], -v[14:15]
	v_fma_f64 v[22:23], v[22:23], s[22:23], -v[74:75]
	v_fma_f64 v[72:73], v[80:81], s[10:11], v[78:79]
	v_fma_f64 v[74:75], v[12:13], s[24:25], -v[88:89]
	v_fma_f64 v[76:77], v[64:65], s[14:15], v[82:83]
	v_fma_f64 v[12:13], v[12:13], s[26:27], -v[78:79]
	v_fma_f64 v[20:21], v[20:21], s[20:21], -v[82:83]
	;; [unrolled: 1-line block ×3, first 2 shown]
	v_add_nc_u32_e32 v109, 0x1400, v174
	v_fma_f64 v[18:19], v[18:19], s[6:7], v[90:91]
	v_fma_f64 v[78:79], v[60:61], s[10:11], v[30:31]
	;; [unrolled: 1-line block ×4, first 2 shown]
	v_fma_f64 v[82:83], v[4:5], s[24:25], -v[92:93]
	v_fma_f64 v[4:5], v[4:5], s[26:27], -v[30:31]
	;; [unrolled: 1-line block ×4, first 2 shown]
	v_fma_f64 v[26:27], v[28:29], s[6:7], v[94:95]
	ds_read_b64 v[60:61], v174
	ds_read_b64 v[62:63], v175
	ds_read_b64 v[64:65], v176
	ds_read_b64 v[66:67], v177
	v_fma_f64 v[28:29], v[2:3], s[4:5], v[34:35]
	v_fma_f64 v[34:35], v[2:3], s[4:5], v[14:15]
	;; [unrolled: 1-line block ×6, first 2 shown]
	v_add_f64 v[24:25], v[24:25], v[18:19]
	v_add_f64 v[88:89], v[6:7], v[18:19]
	;; [unrolled: 1-line block ×3, first 2 shown]
	v_fma_f64 v[80:81], v[0:1], s[4:5], v[80:81]
	v_add_f64 v[102:103], v[72:73], v[32:33]
	v_add_f64 v[105:106], v[12:13], v[32:33]
	;; [unrolled: 1-line block ×3, first 2 shown]
	v_fma_f64 v[30:31], v[0:1], s[4:5], v[30:31]
	v_fma_f64 v[74:75], v[0:1], s[4:5], v[8:9]
	v_add_f64 v[78:79], v[78:79], v[26:27]
	v_add_f64 v[82:83], v[82:83], v[26:27]
	;; [unrolled: 1-line block ×3, first 2 shown]
	ds_read_b64 v[72:73], v181
	ds_read_b64 v[70:71], v179
	ds_read2_b64 v[4:7], v111 offset0:72 offset1:128
	ds_read2_b64 v[0:3], v114 offset0:40 offset1:96
	;; [unrolled: 1-line block ×6, first 2 shown]
	v_add_f64 v[107:108], v[24:25], -v[28:29]
	v_add_f64 v[114:115], v[88:89], -v[86:87]
	v_add_f64 v[116:117], v[34:35], v[92:93]
	v_add_f64 v[92:93], v[92:93], -v[34:35]
	v_add_f64 v[86:87], v[86:87], v[88:89]
	v_add_f64 v[88:89], v[28:29], v[24:25]
	v_add_f64 v[120:121], v[105:106], -v[98:99]
	v_add_f64 v[122:123], v[96:97], v[32:33]
	v_add_f64 v[96:97], v[32:33], -v[96:97]
	v_add_f64 v[98:99], v[98:99], v[105:106]
	v_add_f64 v[124:125], v[30:31], v[82:83]
	v_add_f64 v[105:106], v[26:27], -v[74:75]
	v_add_f64 v[82:83], v[82:83], -v[30:31]
	v_add_f64 v[74:75], v[74:75], v[26:27]
	ds_read2_b64 v[24:27], v126 offset0:192 offset1:248
	ds_read2_b64 v[32:35], v109 offset0:88 offset1:144
	;; [unrolled: 1-line block ×3, first 2 shown]
	v_add_f64 v[118:119], v[102:103], -v[76:77]
	v_add_f64 v[76:77], v[76:77], v[102:103]
	v_add_f64 v[102:103], v[78:79], -v[80:81]
	v_add_f64 v[78:79], v[80:81], v[78:79]
	s_waitcnt lgkmcnt(0)
	s_barrier
	buffer_gl0_inv
	ds_write2_b64 v112, v[90:91], v[107:108] offset1:40
	ds_write2_b64 v112, v[114:115], v[116:117] offset0:80 offset1:120
	ds_write2_b64 v112, v[92:93], v[86:87] offset0:160 offset1:200
	ds_write_b64 v112, v[88:89] offset:1920
	ds_write2_b64 v113, v[84:85], v[118:119] offset1:40
	ds_write2_b64 v113, v[120:121], v[122:123] offset0:80 offset1:120
	ds_write2_b64 v113, v[96:97], v[98:99] offset0:160 offset1:200
	ds_write_b64 v113, v[76:77] offset:1920
	;; [unrolled: 4-line block ×3, first 2 shown]
	s_and_saveexec_b32 s1, s0
	s_cbranch_execz .LBB0_43
; %bb.42:
	v_add_f64 v[40:41], v[40:41], v[58:59]
	v_add_f64 v[42:43], v[42:43], v[56:57]
	;; [unrolled: 1-line block ×3, first 2 shown]
	v_add_f64 v[38:39], v[38:39], -v[52:53]
	v_add_f64 v[44:45], v[48:49], -v[44:45]
	;; [unrolled: 1-line block ×3, first 2 shown]
	s_mov_b32 s4, 0x37e14327
	s_mov_b32 s5, 0x3fe948f6
	;; [unrolled: 1-line block ×10, first 2 shown]
	v_add_f64 v[48:49], v[42:43], v[40:41]
	v_add_f64 v[50:51], v[40:41], -v[46:47]
	v_add_f64 v[52:53], v[46:47], -v[42:43]
	;; [unrolled: 1-line block ×5, first 2 shown]
	v_add_f64 v[38:39], v[44:45], v[38:39]
	v_add_f64 v[42:43], v[36:37], -v[44:45]
	v_add_f64 v[46:47], v[46:47], v[48:49]
	v_mul_f64 v[44:45], v[50:51], s[4:5]
	s_mov_b32 s4, 0x429ad128
	v_mul_f64 v[48:49], v[52:53], s[6:7]
	v_mul_f64 v[50:51], v[54:55], s[10:11]
	s_mov_b32 s5, 0xbfebfeb5
	s_mov_b32 s10, 0xaaaaaaaa
	v_mul_f64 v[54:55], v[56:57], s[4:5]
	s_mov_b32 s11, 0xbff2aaaa
	v_add_f64 v[36:37], v[38:39], v[36:37]
	v_add_f64 v[58:59], v[100:101], v[46:47]
	v_fma_f64 v[38:39], v[52:53], s[6:7], v[44:45]
	v_fma_f64 v[48:49], v[40:41], s[14:15], -v[48:49]
	s_mov_b32 s15, 0xbfe77f67
	v_fma_f64 v[52:53], v[42:43], s[16:17], v[50:51]
	s_mov_b32 s17, 0x3fd5d0dc
	v_fma_f64 v[50:51], v[56:57], s[4:5], -v[50:51]
	v_fma_f64 v[42:43], v[42:43], s[16:17], -v[54:55]
	;; [unrolled: 1-line block ×3, first 2 shown]
	s_mov_b32 s4, 0x37c3f68c
	s_mov_b32 s5, 0xbfdc38aa
	v_fma_f64 v[46:47], v[46:47], s[10:11], v[58:59]
	v_fma_f64 v[44:45], v[36:37], s[4:5], v[52:53]
	;; [unrolled: 1-line block ×4, first 2 shown]
	v_add_f64 v[38:39], v[38:39], v[46:47]
	v_add_f64 v[40:41], v[40:41], v[46:47]
	;; [unrolled: 1-line block ×3, first 2 shown]
	v_add_f64 v[46:47], v[38:39], -v[44:45]
	v_add_f64 v[48:49], v[40:41], -v[36:37]
	v_add_f64 v[52:53], v[50:51], v[42:43]
	v_add_f64 v[42:43], v[42:43], -v[50:51]
	v_add_f64 v[36:37], v[36:37], v[40:41]
	v_add_f64 v[38:39], v[44:45], v[38:39]
	v_add_nc_u32_e32 v40, 0x2000, v104
	v_add_nc_u32_e32 v41, 0x2800, v104
	ds_write2_b64 v40, v[58:59], v[46:47] offset0:96 offset1:136
	ds_write2_b64 v40, v[48:49], v[52:53] offset0:176 offset1:216
	ds_write2_b64 v41, v[42:43], v[36:37] offset1:40
	ds_write_b64 v104, v[38:39] offset:10880
.LBB0_43:
	s_or_b32 exec_lo, exec_lo, s1
	s_waitcnt lgkmcnt(0)
	s_barrier
	buffer_gl0_inv
	s_and_saveexec_b32 s0, vcc_lo
	s_cbranch_execz .LBB0_45
; %bb.44:
	v_lshlrev_b32_e32 v74, 2, v180
	v_mov_b32_e32 v75, 0
	v_add_nc_u32_e32 v134, 0x1400, v174
	v_add_nc_u32_e32 v146, 0x2800, v174
	v_mad_u64_u32 v[186:187], null, s2, v161, 0
	v_lshlrev_b64 v[36:37], 4, v[74:75]
	v_lshlrev_b32_e32 v74, 2, v178
	v_add_nc_u32_e32 v178, 0x2000, v174
	v_add_nc_u32_e32 v180, 0x1800, v174
	;; [unrolled: 1-line block ×3, first 2 shown]
	s_mov_b32 s11, 0xbfee6f0e
	v_add_co_u32 v38, vcc_lo, s8, v36
	v_add_co_ci_u32_e32 v39, vcc_lo, s9, v37, vcc_lo
	v_lshlrev_b64 v[52:53], 4, v[74:75]
	v_add_co_u32 v36, vcc_lo, 0x1000, v38
	v_add_co_ci_u32_e32 v37, vcc_lo, 0, v39, vcc_lo
	v_add_co_u32 v48, vcc_lo, 0x1160, v38
	v_add_co_ci_u32_e32 v49, vcc_lo, 0, v39, vcc_lo
	v_add_co_u32 v54, vcc_lo, s8, v52
	v_lshlrev_b32_e32 v74, 2, v173
	v_add_co_ci_u32_e32 v55, vcc_lo, s9, v53, vcc_lo
	v_add_co_u32 v80, vcc_lo, 0x1160, v54
	v_lshlrev_b64 v[52:53], 4, v[74:75]
	v_add_co_ci_u32_e32 v81, vcc_lo, 0, v55, vcc_lo
	v_add_co_u32 v54, vcc_lo, 0x1000, v54
	v_add_co_ci_u32_e32 v55, vcc_lo, 0, v55, vcc_lo
	v_add_co_u32 v76, vcc_lo, s8, v52
	v_lshlrev_b32_e32 v74, 2, v172
	v_add_co_ci_u32_e32 v77, vcc_lo, s9, v53, vcc_lo
	v_add_co_u32 v84, vcc_lo, 0x1000, v76
	v_lshlrev_b64 v[100:101], 4, v[74:75]
	v_add_co_ci_u32_e32 v85, vcc_lo, 0, v77, vcc_lo
	v_add_co_u32 v96, vcc_lo, 0x1160, v76
	v_add_co_ci_u32_e32 v97, vcc_lo, 0, v77, vcc_lo
	v_add_co_u32 v100, vcc_lo, s8, v100
	v_lshlrev_b32_e32 v74, 2, v161
	s_clause 0x7
	global_load_dwordx4 v[40:43], v[36:37], off offset:352
	global_load_dwordx4 v[36:39], v[48:49], off offset:48
	;; [unrolled: 1-line block ×8, first 2 shown]
	v_add_co_ci_u32_e32 v101, vcc_lo, s9, v101, vcc_lo
	v_add_co_u32 v112, vcc_lo, 0x1160, v100
	v_lshlrev_b64 v[74:75], 4, v[74:75]
	v_add_co_ci_u32_e32 v113, vcc_lo, 0, v101, vcc_lo
	v_add_co_u32 v108, vcc_lo, 0x1000, v100
	v_add_co_ci_u32_e32 v109, vcc_lo, 0, v101, vcc_lo
	v_add_co_u32 v116, vcc_lo, s8, v74
	v_add_co_ci_u32_e32 v117, vcc_lo, s9, v75, vcc_lo
	s_clause 0x3
	global_load_dwordx4 v[84:87], v[84:85], off offset:352
	global_load_dwordx4 v[88:91], v[96:97], off offset:48
	;; [unrolled: 1-line block ×4, first 2 shown]
	v_add_co_u32 v74, vcc_lo, 0x1160, v116
	v_add_co_ci_u32_e32 v75, vcc_lo, 0, v117, vcc_lo
	v_add_co_u32 v120, vcc_lo, 0x1000, v116
	v_add_co_ci_u32_e32 v121, vcc_lo, 0, v117, vcc_lo
	s_clause 0x7
	global_load_dwordx4 v[100:103], v[112:113], off offset:32
	global_load_dwordx4 v[104:107], v[112:113], off offset:16
	;; [unrolled: 1-line block ×8, first 2 shown]
	v_add_nc_u32_e32 v172, 0x800, v174
	ds_read_b64 v[74:75], v179
	ds_read_b64 v[158:159], v182
	;; [unrolled: 1-line block ×7, first 2 shown]
	ds_read2_b64 v[134:137], v134 offset0:88 offset1:144
	ds_read2_b64 v[138:141], v172 offset0:192 offset1:248
	;; [unrolled: 1-line block ×4, first 2 shown]
	v_mov_b32_e32 v150, v187
	s_mov_b32 s8, 0x134454ff
	s_mov_b32 s9, 0x3fee6f0e
	;; [unrolled: 1-line block ×4, first 2 shown]
	v_mad_u64_u32 v[200:201], null, s3, v161, v[150:151]
	ds_read2_b64 v[150:153], v180 offset0:184 offset1:240
	ds_read2_b64 v[154:157], v154 offset0:104 offset1:160
	;; [unrolled: 1-line block ×5, first 2 shown]
	s_mov_b32 s5, 0xbfe2cf23
	s_mov_b32 s7, 0x3fe2cf23
	s_mov_b32 s6, s4
	s_mov_b32 s0, 0x372fe950
	s_mov_b32 s1, 0x3fd3c6ef
	v_mov_b32_e32 v187, v200
	v_mad_u64_u32 v[196:197], null, s2, v170, 0
	v_mad_u64_u32 v[198:199], null, s2, v169, 0
	s_waitcnt vmcnt(19)
	v_mul_f64 v[202:203], v[26:27], v[42:43]
	s_waitcnt vmcnt(18)
	v_mul_f64 v[206:207], v[30:31], v[38:39]
	;; [unrolled: 2-line block ×4, first 2 shown]
	s_waitcnt lgkmcnt(8)
	v_mul_f64 v[50:51], v[136:137], v[50:51]
	s_waitcnt lgkmcnt(6)
	v_mul_f64 v[46:47], v[142:143], v[46:47]
	v_mul_f64 v[42:43], v[140:141], v[42:43]
	s_waitcnt vmcnt(12)
	v_mul_f64 v[208:209], v[32:33], v[82:83]
	s_waitcnt lgkmcnt(5)
	v_mul_f64 v[38:39], v[148:149], v[38:39]
	v_mul_f64 v[82:83], v[134:135], v[82:83]
	;; [unrolled: 1-line block ×5, first 2 shown]
	s_waitcnt lgkmcnt(4)
	v_mul_f64 v[78:79], v[152:153], v[78:79]
	v_mul_f64 v[54:55], v[138:139], v[54:55]
	;; [unrolled: 1-line block ×3, first 2 shown]
	s_waitcnt vmcnt(11)
	v_mul_f64 v[218:219], v[10:11], v[86:87]
	s_waitcnt vmcnt(10)
	v_mul_f64 v[222:223], v[14:15], v[90:91]
	;; [unrolled: 2-line block ×4, first 2 shown]
	s_waitcnt lgkmcnt(3)
	v_mul_f64 v[98:99], v[156:157], v[98:99]
	v_mul_f64 v[94:95], v[150:151], v[94:95]
	s_waitcnt lgkmcnt(2)
	v_mul_f64 v[86:87], v[174:175], v[86:87]
	v_fma_f64 v[136:137], v[48:49], v[136:137], -v[200:201]
	v_fma_f64 v[34:35], v[34:35], v[48:49], v[50:51]
	v_fma_f64 v[0:1], v[0:1], v[44:45], v[46:47]
	v_fma_f64 v[26:27], v[26:27], v[40:41], v[42:43]
	s_waitcnt vmcnt(7)
	v_mul_f64 v[50:51], v[6:7], v[102:103]
	s_waitcnt vmcnt(6)
	v_mul_f64 v[224:225], v[16:17], v[106:107]
	;; [unrolled: 2-line block ×3, first 2 shown]
	v_fma_f64 v[134:135], v[80:81], v[134:135], -v[208:209]
	v_mul_f64 v[106:107], v[154:155], v[106:107]
	v_fma_f64 v[32:33], v[32:33], v[80:81], v[82:83]
	s_waitcnt lgkmcnt(0)
	v_mul_f64 v[80:81], v[182:183], v[102:103]
	v_mul_f64 v[82:83], v[172:173], v[110:111]
	s_waitcnt vmcnt(4)
	v_mul_f64 v[102:103], v[176:177], v[114:115]
	s_waitcnt vmcnt(3)
	;; [unrolled: 2-line block ×3, first 2 shown]
	v_mul_f64 v[46:47], v[4:5], v[126:127]
	v_fma_f64 v[30:31], v[30:31], v[36:37], v[38:39]
	v_mul_f64 v[90:91], v[178:179], v[90:91]
	v_mul_f64 v[200:201], v[12:13], v[114:115]
	v_fma_f64 v[114:115], v[44:45], v[142:143], -v[204:205]
	v_mul_f64 v[44:45], v[72:73], v[122:123]
	v_fma_f64 v[140:141], v[40:41], v[140:141], -v[202:203]
	s_waitcnt vmcnt(0)
	v_mul_f64 v[40:41], v[2:3], v[130:131]
	v_mul_f64 v[42:43], v[158:159], v[118:119]
	v_fma_f64 v[118:119], v[36:37], v[148:149], -v[206:207]
	v_mul_f64 v[36:37], v[180:181], v[126:127]
	v_mul_f64 v[38:39], v[184:185], v[122:123]
	;; [unrolled: 1-line block ×3, first 2 shown]
	v_fma_f64 v[130:131], v[76:77], v[152:153], -v[212:213]
	v_fma_f64 v[122:123], v[52:53], v[138:139], -v[210:211]
	;; [unrolled: 1-line block ×3, first 2 shown]
	v_fma_f64 v[22:23], v[22:23], v[76:77], v[78:79]
	v_fma_f64 v[24:25], v[24:25], v[52:53], v[54:55]
	;; [unrolled: 1-line block ×3, first 2 shown]
	v_fma_f64 v[52:53], v[96:97], v[156:157], -v[216:217]
	v_fma_f64 v[54:55], v[84:85], v[174:175], -v[218:219]
	;; [unrolled: 1-line block ×6, first 2 shown]
	v_fma_f64 v[16:17], v[16:17], v[104:105], v[106:107]
	v_fma_f64 v[6:7], v[6:7], v[100:101], v[80:81]
	;; [unrolled: 1-line block ×4, first 2 shown]
	v_fma_f64 v[80:81], v[116:117], v[158:159], -v[110:111]
	v_fma_f64 v[46:47], v[124:125], v[180:181], -v[46:47]
	v_add_f64 v[100:101], v[26:27], v[30:31]
	v_add_f64 v[108:109], v[34:35], v[0:1]
	v_fma_f64 v[18:19], v[18:19], v[96:97], v[98:99]
	v_fma_f64 v[20:21], v[20:21], v[92:93], v[94:95]
	;; [unrolled: 1-line block ×4, first 2 shown]
	v_fma_f64 v[76:77], v[104:105], v[154:155], -v[224:225]
	v_fma_f64 v[44:45], v[120:121], v[184:185], -v[44:45]
	v_fma_f64 v[42:43], v[68:69], v[116:117], v[42:43]
	v_fma_f64 v[4:5], v[4:5], v[124:125], v[36:37]
	;; [unrolled: 1-line block ×4, first 2 shown]
	v_add_f64 v[2:3], v[136:137], -v[140:141]
	v_add_f64 v[82:83], v[140:141], v[118:119]
	v_add_f64 v[84:85], v[26:27], -v[30:31]
	v_add_f64 v[86:87], v[140:141], -v[136:137]
	v_add_f64 v[90:91], v[136:137], v[114:115]
	v_add_f64 v[92:93], v[140:141], v[74:75]
	v_add_f64 v[94:95], v[34:35], -v[26:27]
	v_add_f64 v[98:99], v[140:141], -v[118:119]
	;; [unrolled: 1-line block ×3, first 2 shown]
	v_add_f64 v[26:27], v[70:71], v[26:27]
	v_add_f64 v[140:141], v[134:135], v[130:131]
	v_fma_f64 v[40:41], v[128:129], v[144:145], -v[40:41]
	v_add_f64 v[38:39], v[114:115], -v[118:119]
	v_add_f64 v[88:89], v[118:119], -v[114:115]
	v_fma_f64 v[78:79], v[112:113], v[176:177], -v[200:201]
	v_add_f64 v[96:97], v[0:1], -v[30:31]
	v_add_f64 v[106:107], v[30:31], -v[0:1]
	;; [unrolled: 1-line block ×4, first 2 shown]
	v_add_f64 v[120:121], v[122:123], v[138:139]
	v_add_f64 v[124:125], v[24:25], -v[28:29]
	v_add_f64 v[126:127], v[122:123], -v[134:135]
	;; [unrolled: 1-line block ×5, first 2 shown]
	v_add_f64 v[148:149], v[24:25], v[28:29]
	v_add_f64 v[152:153], v[24:25], -v[32:33]
	v_add_f64 v[154:155], v[28:29], -v[22:23]
	v_add_f64 v[156:157], v[32:33], v[22:23]
	v_add_f64 v[24:25], v[66:67], v[24:25]
	;; [unrolled: 1-line block ×4, first 2 shown]
	v_add_f64 v[224:225], v[8:9], -v[12:13]
	v_add_f64 v[234:235], v[16:17], -v[8:9]
	v_add_f64 v[238:239], v[8:9], v[12:13]
	v_add_f64 v[242:243], v[8:9], -v[16:17]
	v_add_f64 v[8:9], v[62:63], v[8:9]
	v_fma_f64 v[100:101], v[100:101], -0.5, v[70:71]
	v_fma_f64 v[70:71], v[108:109], -0.5, v[70:71]
	v_add_f64 v[108:109], v[80:81], v[46:47]
	v_add_f64 v[72:73], v[34:35], -v[0:1]
	v_add_f64 v[102:103], v[136:137], -v[114:115]
	v_add_f64 v[142:143], v[122:123], v[188:189]
	v_add_f64 v[158:159], v[52:53], -v[54:55]
	v_add_f64 v[172:173], v[56:57], -v[58:59]
	;; [unrolled: 1-line block ×4, first 2 shown]
	v_add_f64 v[200:201], v[54:55], v[190:191]
	v_add_f64 v[206:207], v[10:11], v[14:15]
	v_fma_f64 v[82:83], v[82:83], -0.5, v[74:75]
	v_fma_f64 v[74:75], v[90:91], -0.5, v[74:75]
	v_add_f64 v[90:91], v[136:137], v[92:93]
	v_add_f64 v[26:27], v[34:35], v[26:27]
	;; [unrolled: 1-line block ×3, first 2 shown]
	v_fma_f64 v[136:137], v[140:141], -0.5, v[188:189]
	v_add_f64 v[140:141], v[36:37], v[68:69]
	v_add_f64 v[248:249], v[80:81], -v[44:45]
	v_add_f64 v[250:251], v[2:3], v[38:39]
	v_add_f64 v[2:3], v[46:47], -v[40:41]
	v_add_f64 v[86:87], v[86:87], v[88:89]
	v_add_f64 v[88:89], v[44:45], v[40:41]
	v_add_f64 v[116:117], v[32:33], -v[22:23]
	v_add_f64 v[178:179], v[10:11], -v[14:15]
	v_add_f64 v[214:215], v[18:19], v[20:21]
	v_add_f64 v[220:221], v[16:17], -v[6:7]
	v_add_f64 v[246:247], v[16:17], v[6:7]
	;; [unrolled: 2-line block ×6, first 2 shown]
	v_add_f64 v[128:129], v[4:5], -v[68:69]
	v_fma_f64 v[120:121], v[120:121], -0.5, v[188:189]
	v_add_f64 v[144:145], v[144:145], v[146:147]
	v_add_f64 v[146:147], v[36:37], -v[42:43]
	v_add_f64 v[152:153], v[152:153], v[154:155]
	v_add_f64 v[154:155], v[68:69], -v[4:5]
	v_fma_f64 v[148:149], v[148:149], -0.5, v[66:67]
	v_fma_f64 v[66:67], v[156:157], -0.5, v[66:67]
	v_add_f64 v[156:157], v[42:43], v[4:5]
	v_add_f64 v[36:37], v[60:61], v[36:37]
	v_add_f64 v[24:25], v[32:33], v[24:25]
	v_fma_f64 v[32:33], v[176:177], -0.5, v[190:191]
	v_fma_f64 v[176:177], v[184:185], -0.5, v[190:191]
	v_add_f64 v[8:9], v[16:17], v[8:9]
	v_fma_f64 v[16:17], v[108:109], -0.5, v[194:195]
	v_add_f64 v[150:151], v[134:135], -v[130:131]
	v_add_f64 v[174:175], v[18:19], -v[20:21]
	;; [unrolled: 1-line block ×5, first 2 shown]
	v_add_f64 v[134:135], v[134:135], v[142:143]
	v_add_f64 v[142:143], v[80:81], -v[46:47]
	v_add_f64 v[158:159], v[158:159], v[172:173]
	v_add_f64 v[172:173], v[180:181], v[182:183]
	;; [unrolled: 1-line block ×3, first 2 shown]
	v_fma_f64 v[182:183], v[206:207], -0.5, v[64:65]
	v_add_f64 v[34:35], v[80:81], v[34:35]
	v_fma_f64 v[80:81], v[140:141], -0.5, v[60:61]
	v_add_f64 v[210:211], v[10:11], -v[18:19]
	v_add_f64 v[212:213], v[14:15], -v[20:21]
	;; [unrolled: 1-line block ×3, first 2 shown]
	v_add_f64 v[206:207], v[248:249], v[2:3]
	v_fma_f64 v[2:3], v[88:89], -0.5, v[194:195]
	v_add_f64 v[202:203], v[18:19], -v[10:11]
	v_add_f64 v[10:11], v[64:65], v[10:11]
	v_fma_f64 v[64:65], v[214:215], -0.5, v[64:65]
	v_add_f64 v[88:89], v[96:97], v[106:107]
	v_add_f64 v[96:97], v[112:113], v[128:129]
	;; [unrolled: 1-line block ×3, first 2 shown]
	v_fma_f64 v[60:61], v[156:157], -0.5, v[60:61]
	v_add_f64 v[36:37], v[42:43], v[36:37]
	v_fma_f64 v[42:43], v[72:73], s[8:9], v[82:83]
	v_fma_f64 v[82:83], v[72:73], s[10:11], v[82:83]
	v_fma_f64 v[108:109], v[84:85], s[10:11], v[74:75]
	v_fma_f64 v[74:75], v[84:85], s[8:9], v[74:75]
	v_add_f64 v[90:91], v[114:115], v[90:91]
	v_fma_f64 v[112:113], v[102:103], s[10:11], v[100:101]
	v_fma_f64 v[100:101], v[102:103], s[8:9], v[100:101]
	v_fma_f64 v[114:115], v[98:99], s[8:9], v[70:71]
	v_fma_f64 v[70:71], v[98:99], s[10:11], v[70:71]
	;; [unrolled: 5-line block ×3, first 2 shown]
	v_fma_f64 v[156:157], v[178:179], s[8:9], v[176:177]
	v_fma_f64 v[214:215], v[92:93], s[10:11], v[16:17]
	;; [unrolled: 1-line block ×3, first 2 shown]
	v_add_f64 v[54:55], v[54:55], -v[58:59]
	v_add_f64 v[44:45], v[44:45], -v[40:41]
	;; [unrolled: 1-line block ×3, first 2 shown]
	v_add_f64 v[188:189], v[216:217], v[218:219]
	v_fma_f64 v[136:137], v[124:125], s[8:9], v[136:137]
	v_add_f64 v[130:131], v[130:131], v[134:135]
	v_fma_f64 v[134:135], v[150:151], s[10:11], v[148:149]
	v_fma_f64 v[140:141], v[150:151], s[8:9], v[148:149]
	;; [unrolled: 1-line block ×4, first 2 shown]
	v_add_f64 v[52:53], v[56:57], v[52:53]
	v_fma_f64 v[56:57], v[208:209], s[10:11], v[182:183]
	v_fma_f64 v[176:177], v[208:209], s[8:9], v[182:183]
	;; [unrolled: 1-line block ×4, first 2 shown]
	v_add_f64 v[236:237], v[6:7], -v[12:13]
	v_add_f64 v[244:245], v[12:13], -v[6:7]
	v_add_f64 v[184:185], v[210:211], v[212:213]
	v_add_f64 v[6:7], v[8:9], v[6:7]
	v_fma_f64 v[8:9], v[38:39], s[8:9], v[2:3]
	v_fma_f64 v[212:213], v[38:39], s[10:11], v[2:3]
	v_add_f64 v[10:11], v[18:19], v[10:11]
	v_add_f64 v[4:5], v[36:37], v[4:5]
	v_fma_f64 v[42:43], v[84:85], s[4:5], v[42:43]
	v_fma_f64 v[82:83], v[84:85], s[6:7], v[82:83]
	;; [unrolled: 1-line block ×4, first 2 shown]
	v_add_f64 v[2:3], v[118:119], v[90:91]
	v_fma_f64 v[74:75], v[98:99], s[6:7], v[112:113]
	v_fma_f64 v[90:91], v[98:99], s[4:5], v[100:101]
	;; [unrolled: 1-line block ×10, first 2 shown]
	v_add_f64 v[204:205], v[20:21], -v[14:15]
	v_add_f64 v[222:223], v[48:49], v[78:79]
	v_add_f64 v[230:231], v[76:77], v[50:51]
	v_fma_f64 v[182:183], v[54:55], s[8:9], v[64:65]
	v_fma_f64 v[218:219], v[44:45], s[8:9], v[60:61]
	;; [unrolled: 1-line block ×3, first 2 shown]
	v_add_f64 v[46:47], v[46:47], v[34:35]
	v_fma_f64 v[146:147], v[122:123], s[8:9], v[66:67]
	v_fma_f64 v[66:67], v[122:123], s[10:11], v[66:67]
	v_add_f64 v[0:1], v[0:1], v[30:31]
	v_fma_f64 v[112:113], v[116:117], s[6:7], v[136:137]
	v_fma_f64 v[114:115], v[122:123], s[6:7], v[134:135]
	;; [unrolled: 1-line block ×5, first 2 shown]
	v_add_f64 v[30:31], v[58:59], v[52:53]
	v_fma_f64 v[52:53], v[54:55], s[6:7], v[56:57]
	v_fma_f64 v[56:57], v[54:55], s[4:5], v[176:177]
	;; [unrolled: 1-line block ×5, first 2 shown]
	v_add_f64 v[22:23], v[24:25], v[22:23]
	v_fma_f64 v[154:155], v[92:93], s[4:5], v[8:9]
	v_fma_f64 v[92:93], v[92:93], s[6:7], v[212:213]
	v_add_f64 v[10:11], v[10:11], v[20:21]
	v_add_f64 v[232:233], v[48:49], v[192:193]
	;; [unrolled: 1-line block ×3, first 2 shown]
	v_fma_f64 v[4:5], v[104:105], s[0:1], v[98:99]
	v_fma_f64 v[98:99], v[88:89], s[0:1], v[174:175]
	v_add_f64 v[226:227], v[48:49], -v[76:77]
	v_add_f64 v[48:49], v[48:49], -v[78:79]
	v_add_f64 v[180:181], v[202:203], v[204:205]
	v_fma_f64 v[18:19], v[222:223], -0.5, v[192:193]
	v_fma_f64 v[192:193], v[230:231], -0.5, v[192:193]
	;; [unrolled: 1-line block ×4, first 2 shown]
	v_add_f64 v[26:27], v[138:139], v[130:131]
	v_fma_f64 v[130:131], v[208:209], s[6:7], v[182:183]
	v_fma_f64 v[182:183], v[142:143], s[6:7], v[218:219]
	;; [unrolled: 1-line block ×3, first 2 shown]
	v_add_f64 v[38:39], v[40:41], v[46:47]
	v_add_f64 v[32:33], v[6:7], v[12:13]
	v_fma_f64 v[6:7], v[86:87], s[0:1], v[84:85]
	v_fma_f64 v[8:9], v[94:95], s[0:1], v[74:75]
	;; [unrolled: 1-line block ×6, first 2 shown]
	v_mad_u64_u32 v[96:97], null, s3, v170, v[197:198]
	v_mov_b32_e32 v97, v199
	v_add_f64 v[24:25], v[22:23], v[28:29]
	v_fma_f64 v[22:23], v[126:127], s[0:1], v[108:109]
	v_fma_f64 v[90:91], v[206:207], s[0:1], v[92:93]
	v_lshlrev_b64 v[92:93], 4, v[186:187]
	v_add_nc_u32_e32 v108, 0x348, v161
	v_add_f64 v[28:29], v[10:11], v[14:15]
	v_fma_f64 v[10:11], v[250:251], s[0:1], v[42:43]
	v_fma_f64 v[42:43], v[110:111], s[0:1], v[100:101]
	;; [unrolled: 1-line block ×3, first 2 shown]
	v_add_co_u32 v110, vcc_lo, s12, v132
	v_add_co_ci_u32_e32 v111, vcc_lo, s13, v133, vcc_lo
	v_add_f64 v[240:241], v[76:77], -v[50:51]
	v_add_f64 v[76:77], v[76:77], v[232:233]
	v_fma_f64 v[40:41], v[144:145], s[0:1], v[114:115]
	v_mad_u64_u32 v[102:103], null, s3, v169, v[97:98]
	v_fma_f64 v[16:17], v[104:105], s[0:1], v[70:71]
	v_mad_u64_u32 v[103:104], null, s2, v108, 0
	v_add_co_u32 v100, vcc_lo, v110, v92
	v_add_f64 v[228:229], v[78:79], -v[50:51]
	v_fma_f64 v[194:195], v[224:225], s[10:11], v[192:193]
	v_fma_f64 v[192:193], v[224:225], s[8:9], v[192:193]
	;; [unrolled: 1-line block ×4, first 2 shown]
	v_add_co_ci_u32_e32 v101, vcc_lo, v111, v93, vcc_lo
	v_add_nc_u32_e32 v109, 0x460, v161
	v_mov_b32_e32 v197, v96
	v_fma_f64 v[96:97], v[106:107], s[0:1], v[142:143]
	global_store_dwordx4 v[100:101], v[36:39], off
	v_mov_b32_e32 v38, v104
	v_mad_u64_u32 v[100:101], null, s2, v109, 0
	v_mov_b32_e32 v199, v102
	v_lshlrev_b64 v[36:37], 4, v[196:197]
	v_mad_u64_u32 v[38:39], null, s3, v108, v[38:39]
	v_fma_f64 v[92:93], v[106:107], s[0:1], v[182:183]
	v_lshlrev_b64 v[104:105], 4, v[198:199]
	v_mov_b32_e32 v39, v101
	v_add_co_u32 v36, vcc_lo, v110, v36
	v_mad_u64_u32 v[106:107], null, s2, v167, 0
	v_add_co_ci_u32_e32 v37, vcc_lo, v111, v37, vcc_lo
	v_fma_f64 v[20:21], v[220:221], s[8:9], v[18:19]
	v_fma_f64 v[18:19], v[220:221], s[10:11], v[18:19]
	v_add_f64 v[50:51], v[50:51], v[76:77]
	v_fma_f64 v[76:77], v[240:241], s[10:11], v[202:203]
	v_fma_f64 v[202:203], v[240:241], s[8:9], v[202:203]
	v_add_co_u32 v101, vcc_lo, v110, v104
	v_mov_b32_e32 v104, v38
	v_mad_u64_u32 v[38:39], null, s3, v109, v[39:40]
	v_mad_u64_u32 v[108:109], null, s2, v168, 0
	v_add_f64 v[190:191], v[226:227], v[228:229]
	v_add_f64 v[204:205], v[242:243], v[244:245]
	v_fma_f64 v[118:119], v[150:151], s[6:7], v[146:147]
	v_fma_f64 v[66:67], v[150:151], s[4:5], v[66:67]
	;; [unrolled: 1-line block ×4, first 2 shown]
	v_add_co_ci_u32_e32 v102, vcc_lo, v111, v105, vcc_lo
	v_mov_b32_e32 v39, v107
	global_store_dwordx4 v[36:37], v[96:99], off
	global_store_dwordx4 v[101:102], v[88:91], off
	v_mov_b32_e32 v101, v38
	v_mov_b32_e32 v38, v109
	v_mad_u64_u32 v[88:89], null, s3, v167, v[39:40]
	v_lshlrev_b64 v[36:37], 4, v[103:104]
	v_lshlrev_b64 v[89:90], 4, v[100:101]
	v_mad_u64_u32 v[38:39], null, s3, v168, v[38:39]
	v_mad_u64_u32 v[96:97], null, s2, v166, 0
	v_or_b32_e32 v104, 0x380, v161
	v_add_co_u32 v36, vcc_lo, v110, v36
	v_mov_b32_e32 v107, v88
	v_add_nc_u32_e32 v105, 0x498, v161
	v_add_co_ci_u32_e32 v37, vcc_lo, v111, v37, vcc_lo
	v_add_co_u32 v88, vcc_lo, v110, v89
	v_mov_b32_e32 v109, v38
	v_mad_u64_u32 v[98:99], null, s2, v104, 0
	v_add_f64 v[200:201], v[234:235], v[236:237]
	v_fma_f64 v[136:137], v[224:225], s[6:7], v[18:19]
	v_fma_f64 v[146:147], v[48:49], s[4:5], v[202:203]
	;; [unrolled: 1-line block ×6, first 2 shown]
	v_add_co_ci_u32_e32 v89, vcc_lo, v111, v90, vcc_lo
	v_lshlrev_b64 v[90:91], 4, v[106:107]
	v_mov_b32_e32 v38, v97
	v_fma_f64 v[138:139], v[220:221], s[4:5], v[194:195]
	v_add_f64 v[34:35], v[78:79], v[50:51]
	v_fma_f64 v[148:149], v[240:241], s[6:7], v[210:211]
	v_mad_u64_u32 v[100:101], null, s2, v105, 0
	v_fma_f64 v[14:15], v[250:251], s[0:1], v[82:83]
	v_fma_f64 v[82:83], v[190:191], s[0:1], v[140:141]
	;; [unrolled: 1-line block ×3, first 2 shown]
	v_lshlrev_b64 v[102:103], 4, v[108:109]
	v_fma_f64 v[64:65], v[54:55], s[10:11], v[64:65]
	v_mad_u64_u32 v[38:39], null, s3, v166, v[38:39]
	v_add_co_u32 v90, vcc_lo, v110, v90
	v_mov_b32_e32 v39, v99
	v_add_co_ci_u32_e32 v91, vcc_lo, v111, v91, vcc_lo
	v_mov_b32_e32 v97, v101
	v_add_co_u32 v101, vcc_lo, v110, v102
	v_add_co_ci_u32_e32 v102, vcc_lo, v111, v103, vcc_lo
	v_mad_u64_u32 v[103:104], null, s3, v104, v[39:40]
	v_mad_u64_u32 v[104:105], null, s3, v105, v[97:98]
	v_mov_b32_e32 v97, v38
	v_fma_f64 v[74:75], v[188:189], s[0:1], v[136:137]
	v_fma_f64 v[72:73], v[200:201], s[0:1], v[146:147]
	global_store_dwordx4 v[36:37], v[84:87], off
	global_store_dwordx4 v[88:89], v[92:95], off
	;; [unrolled: 1-line block ×4, first 2 shown]
	v_mov_b32_e32 v99, v103
	v_lshlrev_b64 v[32:33], 4, v[96:97]
	v_fma_f64 v[70:71], v[188:189], s[0:1], v[134:135]
	v_fma_f64 v[68:69], v[200:201], s[0:1], v[76:77]
	;; [unrolled: 1-line block ×4, first 2 shown]
	v_lshlrev_b64 v[36:37], 4, v[98:99]
	v_fma_f64 v[64:65], v[208:209], s[4:5], v[64:65]
	v_mov_b32_e32 v101, v104
	v_mad_u64_u32 v[34:35], null, s2, v164, 0
	v_add_co_u32 v32, vcc_lo, v110, v32
	v_add_co_ci_u32_e32 v33, vcc_lo, v111, v33, vcc_lo
	v_mad_u64_u32 v[80:81], null, s2, v165, 0
	v_add_co_u32 v36, vcc_lo, v110, v36
	v_lshlrev_b64 v[38:39], 4, v[100:101]
	v_add_co_ci_u32_e32 v37, vcc_lo, v111, v37, vcc_lo
	v_mad_u64_u32 v[82:83], null, s3, v164, v[35:36]
	v_mov_b32_e32 v35, v81
	v_add_co_u32 v38, vcc_lo, v110, v38
	v_add_co_ci_u32_e32 v39, vcc_lo, v111, v39, vcc_lo
	v_mad_u64_u32 v[83:84], null, s3, v165, v[35:36]
	v_mad_u64_u32 v[84:85], null, s2, v171, 0
	v_mov_b32_e32 v35, v82
	global_store_dwordx4 v[32:33], v[72:75], off
	global_store_dwordx4 v[36:37], v[68:71], off
	;; [unrolled: 1-line block ×3, first 2 shown]
	v_add_nc_u32_e32 v39, 0x3b8, v161
	v_fma_f64 v[48:49], v[152:153], s[0:1], v[66:67]
	v_fma_f64 v[66:67], v[172:173], s[0:1], v[128:129]
	v_lshlrev_b64 v[32:33], 4, v[34:35]
	v_fma_f64 v[64:65], v[184:185], s[0:1], v[64:65]
	v_mad_u64_u32 v[35:36], null, s2, v39, 0
	v_mov_b32_e32 v81, v83
	v_mov_b32_e32 v34, v85
	v_add_nc_u32_e32 v71, 0x4d0, v161
	v_add_co_u32 v32, vcc_lo, v110, v32
	v_lshlrev_b64 v[37:38], 4, v[80:81]
	v_mad_u64_u32 v[68:69], null, s3, v171, v[34:35]
	v_mad_u64_u32 v[69:70], null, s2, v71, 0
	v_mov_b32_e32 v34, v36
	v_add_co_ci_u32_e32 v33, vcc_lo, v111, v33, vcc_lo
	v_add_co_u32 v36, vcc_lo, v110, v37
	v_add_co_ci_u32_e32 v37, vcc_lo, v111, v38, vcc_lo
	v_mad_u64_u32 v[38:39], null, s3, v39, v[34:35]
	v_mov_b32_e32 v34, v70
	v_fma_f64 v[58:59], v[158:159], s[0:1], v[122:123]
	v_fma_f64 v[56:57], v[180:181], s[0:1], v[56:57]
	;; [unrolled: 1-line block ×4, first 2 shown]
	v_mov_b32_e32 v85, v68
	global_store_dwordx4 v[32:33], v[28:31], off
	global_store_dwordx4 v[36:37], v[64:67], off
	v_mad_u64_u32 v[30:31], null, s3, v71, v[34:35]
	v_mov_b32_e32 v36, v38
	v_lshlrev_b64 v[28:29], 4, v[84:85]
	v_mad_u64_u32 v[31:32], null, s2, v162, 0
	v_fma_f64 v[62:63], v[172:173], s[0:1], v[124:125]
	v_lshlrev_b64 v[33:34], 4, v[35:36]
	v_mov_b32_e32 v70, v30
	v_add_co_u32 v28, vcc_lo, v110, v28
	v_mad_u64_u32 v[35:36], null, s2, v163, 0
	v_add_co_ci_u32_e32 v29, vcc_lo, v111, v29, vcc_lo
	v_fma_f64 v[60:61], v[184:185], s[0:1], v[130:131]
	v_mov_b32_e32 v30, v32
	v_add_co_u32 v32, vcc_lo, v110, v33
	v_lshlrev_b64 v[37:38], 4, v[69:70]
	v_add_co_ci_u32_e32 v33, vcc_lo, v111, v34, vcc_lo
	global_store_dwordx4 v[28:29], v[56:59], off
	global_store_dwordx4 v[32:33], v[52:55], off
	v_mov_b32_e32 v28, v36
	v_add_co_u32 v29, vcc_lo, v110, v37
	v_mad_u64_u32 v[64:65], null, s3, v162, v[30:31]
	v_add_co_ci_u32_e32 v30, vcc_lo, v111, v38, vcc_lo
	v_mad_u64_u32 v[33:34], null, s3, v163, v[28:29]
	v_add_nc_u32_e32 v39, 0x2d8, v161
	v_add_nc_u32_e32 v52, 0x3f0, v161
	v_mov_b32_e32 v32, v64
	global_store_dwordx4 v[29:30], v[60:63], off
	v_add_nc_u32_e32 v54, 0x508, v161
	v_fma_f64 v[50:51], v[126:127], s[0:1], v[112:113]
	v_mov_b32_e32 v36, v33
	v_lshlrev_b64 v[28:29], 4, v[31:32]
	v_mad_u64_u32 v[30:31], null, s2, v39, 0
	v_mad_u64_u32 v[37:38], null, s2, v52, 0
	v_lshlrev_b64 v[32:33], 4, v[35:36]
	v_add_co_u32 v28, vcc_lo, v110, v28
	v_add_co_ci_u32_e32 v29, vcc_lo, v111, v29, vcc_lo
	v_fma_f64 v[44:45], v[144:145], s[0:1], v[116:117]
	v_mad_u64_u32 v[35:36], null, s3, v39, v[31:32]
	v_mov_b32_e32 v34, v38
	global_store_dwordx4 v[28:29], v[24:27], off
	v_add_co_u32 v32, vcc_lo, v110, v32
	v_add_co_ci_u32_e32 v33, vcc_lo, v111, v33, vcc_lo
	v_mad_u64_u32 v[38:39], null, s3, v52, v[34:35]
	v_mad_u64_u32 v[52:53], null, s2, v54, 0
	v_lshrrev_b32_e32 v34, 3, v160
	v_mov_b32_e32 v31, v35
	v_fma_f64 v[20:21], v[152:153], s[0:1], v[118:119]
	global_store_dwordx4 v[32:33], v[48:51], off
	v_lshlrev_b64 v[27:28], 4, v[37:38]
	v_mul_hi_u32 v34, 0xea0ea0f, v34
	v_lshlrev_b64 v[25:26], 4, v[30:31]
	v_mov_b32_e32 v24, v53
	v_mad_u64_u32 v[29:30], null, s3, v54, v[24:25]
	v_lshrrev_b32_e32 v30, 1, v34
	v_add_co_u32 v24, vcc_lo, v110, v25
	v_add_co_ci_u32_e32 v25, vcc_lo, v111, v26, vcc_lo
	v_mad_u32_u24 v36, 0x460, v30, v160
	v_add_co_u32 v26, vcc_lo, v110, v27
	v_add_co_ci_u32_e32 v27, vcc_lo, v111, v28, vcc_lo
	v_add_nc_u32_e32 v37, 0x230, v36
	v_mov_b32_e32 v53, v29
	v_mad_u64_u32 v[28:29], null, s2, v36, 0
	v_add_nc_u32_e32 v34, 0x118, v36
	v_mad_u64_u32 v[30:31], null, s2, v37, 0
	global_store_dwordx4 v[24:25], v[44:47], off
	global_store_dwordx4 v[26:27], v[40:43], off
	v_mad_u64_u32 v[26:27], null, s2, v34, 0
	v_lshlrev_b64 v[24:25], 4, v[52:53]
	v_add_nc_u32_e32 v39, 0x348, v36
	v_mad_u64_u32 v[32:33], null, s3, v36, v[29:30]
	v_add_nc_u32_e32 v40, 0x460, v36
	v_mad_u64_u32 v[33:34], null, s3, v34, v[27:28]
	v_mov_b32_e32 v27, v31
	v_add_co_u32 v24, vcc_lo, v110, v24
	v_mad_u64_u32 v[34:35], null, s2, v39, 0
	v_add_co_ci_u32_e32 v25, vcc_lo, v111, v25, vcc_lo
	v_mov_b32_e32 v29, v32
	v_mad_u64_u32 v[36:37], null, s3, v37, v[27:28]
	v_mad_u64_u32 v[37:38], null, s2, v40, 0
	global_store_dwordx4 v[24:25], v[20:23], off
	v_lshlrev_b64 v[21:22], 4, v[28:29]
	v_mov_b32_e32 v20, v35
	v_mov_b32_e32 v27, v33
	;; [unrolled: 1-line block ×3, first 2 shown]
	v_mad_u64_u32 v[23:24], null, s3, v39, v[20:21]
	v_mov_b32_e32 v20, v38
	v_add_co_u32 v21, vcc_lo, v110, v21
	v_lshlrev_b64 v[24:25], 4, v[26:27]
	v_add_co_ci_u32_e32 v22, vcc_lo, v111, v22, vcc_lo
	v_mad_u64_u32 v[26:27], null, s3, v40, v[20:21]
	v_lshlrev_b64 v[27:28], 4, v[30:31]
	v_mov_b32_e32 v35, v23
	v_add_co_u32 v23, vcc_lo, v110, v24
	v_add_co_ci_u32_e32 v24, vcc_lo, v111, v25, vcc_lo
	v_mov_b32_e32 v38, v26
	v_lshlrev_b64 v[29:30], 4, v[34:35]
	v_add_co_u32 v25, vcc_lo, v110, v27
	v_add_co_ci_u32_e32 v26, vcc_lo, v111, v28, vcc_lo
	v_lshlrev_b64 v[27:28], 4, v[37:38]
	v_add_co_u32 v29, vcc_lo, v110, v29
	v_add_co_ci_u32_e32 v30, vcc_lo, v111, v30, vcc_lo
	v_add_co_u32 v27, vcc_lo, v110, v27
	v_add_co_ci_u32_e32 v28, vcc_lo, v111, v28, vcc_lo
	global_store_dwordx4 v[21:22], v[0:3], off
	global_store_dwordx4 v[23:24], v[16:19], off
	;; [unrolled: 1-line block ×5, first 2 shown]
.LBB0_45:
	s_endpgm
	.section	.rodata,"a",@progbits
	.p2align	6, 0x0
	.amdhsa_kernel fft_rtc_back_len1400_factors_2_2_2_5_7_5_wgs_56_tpt_56_halfLds_dp_ip_CI_sbrr_dirReg
		.amdhsa_group_segment_fixed_size 0
		.amdhsa_private_segment_fixed_size 0
		.amdhsa_kernarg_size 88
		.amdhsa_user_sgpr_count 6
		.amdhsa_user_sgpr_private_segment_buffer 1
		.amdhsa_user_sgpr_dispatch_ptr 0
		.amdhsa_user_sgpr_queue_ptr 0
		.amdhsa_user_sgpr_kernarg_segment_ptr 1
		.amdhsa_user_sgpr_dispatch_id 0
		.amdhsa_user_sgpr_flat_scratch_init 0
		.amdhsa_user_sgpr_private_segment_size 0
		.amdhsa_wavefront_size32 1
		.amdhsa_uses_dynamic_stack 0
		.amdhsa_system_sgpr_private_segment_wavefront_offset 0
		.amdhsa_system_sgpr_workgroup_id_x 1
		.amdhsa_system_sgpr_workgroup_id_y 0
		.amdhsa_system_sgpr_workgroup_id_z 0
		.amdhsa_system_sgpr_workgroup_info 0
		.amdhsa_system_vgpr_workitem_id 0
		.amdhsa_next_free_vgpr 252
		.amdhsa_next_free_sgpr 28
		.amdhsa_reserve_vcc 1
		.amdhsa_reserve_flat_scratch 0
		.amdhsa_float_round_mode_32 0
		.amdhsa_float_round_mode_16_64 0
		.amdhsa_float_denorm_mode_32 3
		.amdhsa_float_denorm_mode_16_64 3
		.amdhsa_dx10_clamp 1
		.amdhsa_ieee_mode 1
		.amdhsa_fp16_overflow 0
		.amdhsa_workgroup_processor_mode 1
		.amdhsa_memory_ordered 1
		.amdhsa_forward_progress 0
		.amdhsa_shared_vgpr_count 0
		.amdhsa_exception_fp_ieee_invalid_op 0
		.amdhsa_exception_fp_denorm_src 0
		.amdhsa_exception_fp_ieee_div_zero 0
		.amdhsa_exception_fp_ieee_overflow 0
		.amdhsa_exception_fp_ieee_underflow 0
		.amdhsa_exception_fp_ieee_inexact 0
		.amdhsa_exception_int_div_zero 0
	.end_amdhsa_kernel
	.text
.Lfunc_end0:
	.size	fft_rtc_back_len1400_factors_2_2_2_5_7_5_wgs_56_tpt_56_halfLds_dp_ip_CI_sbrr_dirReg, .Lfunc_end0-fft_rtc_back_len1400_factors_2_2_2_5_7_5_wgs_56_tpt_56_halfLds_dp_ip_CI_sbrr_dirReg
                                        ; -- End function
	.section	.AMDGPU.csdata,"",@progbits
; Kernel info:
; codeLenInByte = 21660
; NumSgprs: 30
; NumVgprs: 252
; ScratchSize: 0
; MemoryBound: 1
; FloatMode: 240
; IeeeMode: 1
; LDSByteSize: 0 bytes/workgroup (compile time only)
; SGPRBlocks: 3
; VGPRBlocks: 31
; NumSGPRsForWavesPerEU: 30
; NumVGPRsForWavesPerEU: 252
; Occupancy: 4
; WaveLimiterHint : 1
; COMPUTE_PGM_RSRC2:SCRATCH_EN: 0
; COMPUTE_PGM_RSRC2:USER_SGPR: 6
; COMPUTE_PGM_RSRC2:TRAP_HANDLER: 0
; COMPUTE_PGM_RSRC2:TGID_X_EN: 1
; COMPUTE_PGM_RSRC2:TGID_Y_EN: 0
; COMPUTE_PGM_RSRC2:TGID_Z_EN: 0
; COMPUTE_PGM_RSRC2:TIDIG_COMP_CNT: 0
	.text
	.p2alignl 6, 3214868480
	.fill 48, 4, 3214868480
	.type	__hip_cuid_a5a93c29ef26d8f7,@object ; @__hip_cuid_a5a93c29ef26d8f7
	.section	.bss,"aw",@nobits
	.globl	__hip_cuid_a5a93c29ef26d8f7
__hip_cuid_a5a93c29ef26d8f7:
	.byte	0                               ; 0x0
	.size	__hip_cuid_a5a93c29ef26d8f7, 1

	.ident	"AMD clang version 19.0.0git (https://github.com/RadeonOpenCompute/llvm-project roc-6.4.0 25133 c7fe45cf4b819c5991fe208aaa96edf142730f1d)"
	.section	".note.GNU-stack","",@progbits
	.addrsig
	.addrsig_sym __hip_cuid_a5a93c29ef26d8f7
	.amdgpu_metadata
---
amdhsa.kernels:
  - .args:
      - .actual_access:  read_only
        .address_space:  global
        .offset:         0
        .size:           8
        .value_kind:     global_buffer
      - .offset:         8
        .size:           8
        .value_kind:     by_value
      - .actual_access:  read_only
        .address_space:  global
        .offset:         16
        .size:           8
        .value_kind:     global_buffer
      - .actual_access:  read_only
        .address_space:  global
        .offset:         24
        .size:           8
        .value_kind:     global_buffer
      - .offset:         32
        .size:           8
        .value_kind:     by_value
      - .actual_access:  read_only
        .address_space:  global
        .offset:         40
        .size:           8
        .value_kind:     global_buffer
      - .actual_access:  read_only
        .address_space:  global
        .offset:         48
        .size:           8
        .value_kind:     global_buffer
      - .offset:         56
        .size:           4
        .value_kind:     by_value
      - .actual_access:  read_only
        .address_space:  global
        .offset:         64
        .size:           8
        .value_kind:     global_buffer
      - .actual_access:  read_only
        .address_space:  global
        .offset:         72
        .size:           8
        .value_kind:     global_buffer
      - .address_space:  global
        .offset:         80
        .size:           8
        .value_kind:     global_buffer
    .group_segment_fixed_size: 0
    .kernarg_segment_align: 8
    .kernarg_segment_size: 88
    .language:       OpenCL C
    .language_version:
      - 2
      - 0
    .max_flat_workgroup_size: 56
    .name:           fft_rtc_back_len1400_factors_2_2_2_5_7_5_wgs_56_tpt_56_halfLds_dp_ip_CI_sbrr_dirReg
    .private_segment_fixed_size: 0
    .sgpr_count:     30
    .sgpr_spill_count: 0
    .symbol:         fft_rtc_back_len1400_factors_2_2_2_5_7_5_wgs_56_tpt_56_halfLds_dp_ip_CI_sbrr_dirReg.kd
    .uniform_work_group_size: 1
    .uses_dynamic_stack: false
    .vgpr_count:     252
    .vgpr_spill_count: 0
    .wavefront_size: 32
    .workgroup_processor_mode: 1
amdhsa.target:   amdgcn-amd-amdhsa--gfx1030
amdhsa.version:
  - 1
  - 2
...

	.end_amdgpu_metadata
